;; amdgpu-corpus repo=ROCm/rocFFT kind=compiled arch=gfx906 opt=O3
	.text
	.amdgcn_target "amdgcn-amd-amdhsa--gfx906"
	.amdhsa_code_object_version 6
	.protected	bluestein_single_fwd_len1800_dim1_dp_op_CI_CI ; -- Begin function bluestein_single_fwd_len1800_dim1_dp_op_CI_CI
	.globl	bluestein_single_fwd_len1800_dim1_dp_op_CI_CI
	.p2align	8
	.type	bluestein_single_fwd_len1800_dim1_dp_op_CI_CI,@function
bluestein_single_fwd_len1800_dim1_dp_op_CI_CI: ; @bluestein_single_fwd_len1800_dim1_dp_op_CI_CI
; %bb.0:
	s_load_dwordx4 s[16:19], s[4:5], 0x28
	v_mul_u32_u24_e32 v1, 0x16d, v0
	v_add_u32_sdwa v196, s6, v1 dst_sel:DWORD dst_unused:UNUSED_PAD src0_sel:DWORD src1_sel:WORD_1
	v_mov_b32_e32 v197, 0
	s_waitcnt lgkmcnt(0)
	v_cmp_gt_u64_e32 vcc, s[16:17], v[196:197]
	s_and_saveexec_b64 s[0:1], vcc
	s_cbranch_execz .LBB0_18
; %bb.1:
	s_load_dwordx4 s[0:3], s[4:5], 0x18
	s_load_dwordx4 s[12:15], s[4:5], 0x0
	s_mov_b32 s21, 0xbfe2cf23
	s_mov_b32 s16, 0x372fe950
	;; [unrolled: 1-line block ×3, first 2 shown]
	s_waitcnt lgkmcnt(0)
	s_load_dwordx4 s[8:11], s[0:1], 0x0
	s_movk_i32 s0, 0xb4
	v_mul_lo_u16_sdwa v1, v1, s0 dst_sel:DWORD dst_unused:UNUSED_PAD src0_sel:WORD_1 src1_sel:DWORD
	v_sub_u16_e32 v200, v0, v1
	v_lshlrev_b32_e32 v199, 4, v200
	s_waitcnt lgkmcnt(0)
	v_mad_u64_u32 v[0:1], s[0:1], s10, v196, 0
	v_mad_u64_u32 v[2:3], s[0:1], s8, v200, 0
	v_add_co_u32_e64 v197, s[6:7], s12, v199
	v_mad_u64_u32 v[4:5], s[0:1], s11, v196, v[1:2]
	s_mov_b32 s22, 0x9b97f4a8
	s_mov_b32 s23, 0x3fe9e377
	v_mad_u64_u32 v[5:6], s[0:1], s9, v200, v[3:4]
	v_mov_b32_e32 v1, v4
	v_lshlrev_b64 v[0:1], 4, v[0:1]
	v_mov_b32_e32 v6, s19
	v_mov_b32_e32 v3, v5
	v_add_co_u32_e32 v4, vcc, s18, v0
	v_addc_co_u32_e32 v5, vcc, v6, v1, vcc
	v_lshlrev_b64 v[0:1], 4, v[2:3]
	v_mov_b32_e32 v2, s13
	v_add_co_u32_e32 v0, vcc, v4, v0
	s_mul_i32 s0, s9, 0xb40
	s_mul_hi_u32 s1, s8, 0xb40
	v_addc_co_u32_e32 v1, vcc, v5, v1, vcc
	v_addc_co_u32_e64 v26, vcc, 0, v2, s[6:7]
	s_add_i32 s0, s1, s0
	s_mul_i32 s1, s8, 0xb40
	v_mov_b32_e32 v3, s0
	v_add_co_u32_e32 v2, vcc, s1, v0
	v_addc_co_u32_e32 v3, vcc, v1, v3, vcc
	global_load_dwordx4 v[40:43], v[0:1], off
	global_load_dwordx4 v[44:47], v[2:3], off
	global_load_dwordx4 v[32:35], v199, s[12:13]
	global_load_dwordx4 v[16:19], v199, s[12:13] offset:2880
	v_mov_b32_e32 v1, s0
	v_add_co_u32_e32 v0, vcc, s1, v2
	v_addc_co_u32_e32 v1, vcc, v3, v1, vcc
	s_movk_i32 s8, 0x1000
	v_add_co_u32_e32 v2, vcc, s8, v197
	v_addc_co_u32_e32 v3, vcc, 0, v26, vcc
	global_load_dwordx4 v[48:51], v[0:1], off
	global_load_dwordx4 v[4:7], v[2:3], off offset:1664
	v_mov_b32_e32 v2, s0
	v_add_co_u32_e32 v0, vcc, s1, v0
	v_addc_co_u32_e32 v1, vcc, v1, v2, vcc
	s_movk_i32 s8, 0x2000
	v_add_co_u32_e32 v2, vcc, s8, v197
	v_addc_co_u32_e32 v3, vcc, 0, v26, vcc
	global_load_dwordx4 v[52:55], v[0:1], off
	v_mov_b32_e32 v8, s0
	v_add_co_u32_e32 v0, vcc, s1, v0
	v_addc_co_u32_e32 v1, vcc, v1, v8, vcc
	global_load_dwordx4 v[56:59], v[0:1], off
	global_load_dwordx4 v[28:31], v[2:3], off offset:448
	global_load_dwordx4 v[8:11], v[2:3], off offset:3328
	v_mov_b32_e32 v2, s0
	v_add_co_u32_e32 v0, vcc, s1, v0
	v_addc_co_u32_e32 v1, vcc, v1, v2, vcc
	s_movk_i32 s8, 0x3000
	v_add_co_u32_e32 v2, vcc, s8, v197
	v_addc_co_u32_e32 v3, vcc, 0, v26, vcc
	global_load_dwordx4 v[60:63], v[0:1], off
	global_load_dwordx4 v[12:15], v[2:3], off offset:2112
	v_mov_b32_e32 v2, s0
	v_add_co_u32_e32 v0, vcc, s1, v0
	v_addc_co_u32_e32 v1, vcc, v1, v2, vcc
	s_movk_i32 s8, 0x4000
	v_add_co_u32_e32 v2, vcc, s8, v197
	v_addc_co_u32_e32 v3, vcc, 0, v26, vcc
	global_load_dwordx4 v[64:67], v[0:1], off
	v_mov_b32_e32 v20, s0
	v_add_co_u32_e32 v0, vcc, s1, v0
	v_addc_co_u32_e32 v1, vcc, v1, v20, vcc
	global_load_dwordx4 v[68:71], v[0:1], off
	global_load_dwordx4 v[36:39], v[2:3], off offset:896
	global_load_dwordx4 v[20:23], v[2:3], off offset:3776
	v_mov_b32_e32 v2, s0
	v_add_co_u32_e32 v24, vcc, s1, v0
	v_addc_co_u32_e32 v25, vcc, v1, v2, vcc
	s_movk_i32 s8, 0x5000
	v_add_co_u32_e32 v0, vcc, s8, v197
	v_addc_co_u32_e32 v1, vcc, 0, v26, vcc
	global_load_dwordx4 v[72:75], v[24:25], off
	v_mov_b32_e32 v27, s0
	v_add_co_u32_e32 v24, vcc, s1, v24
	v_addc_co_u32_e32 v25, vcc, v25, v27, vcc
	s_movk_i32 s0, 0x6000
	global_load_dwordx4 v[76:79], v[24:25], off
	v_add_co_u32_e32 v24, vcc, s0, v197
	global_load_dwordx4 v[0:3], v[0:1], off offset:2560
	v_addc_co_u32_e32 v25, vcc, 0, v26, vcc
	global_load_dwordx4 v[24:27], v[24:25], off offset:1344
	s_waitcnt vmcnt(17)
	v_mul_f64 v[80:81], v[42:43], v[34:35]
	v_mul_f64 v[82:83], v[40:41], v[34:35]
	s_waitcnt vmcnt(16)
	v_mul_f64 v[84:85], v[46:47], v[18:19]
	v_mul_f64 v[86:87], v[44:45], v[18:19]
	s_load_dwordx4 s[8:11], s[2:3], 0x0
	s_mov_b32 s0, 0x134454ff
	s_mov_b32 s1, 0x3fee6f0e
	s_mov_b32 s19, 0xbfee6f0e
	v_fma_f64 v[40:41], v[40:41], v[32:33], v[80:81]
	v_fma_f64 v[42:43], v[42:43], v[32:33], -v[82:83]
	v_fma_f64 v[44:45], v[44:45], v[16:17], v[84:85]
	v_fma_f64 v[46:47], v[46:47], v[16:17], -v[86:87]
	ds_write_b128 v199, v[40:43]
	ds_write_b128 v199, v[44:47] offset:2880
	s_waitcnt vmcnt(14)
	v_mul_f64 v[40:41], v[50:51], v[6:7]
	v_mul_f64 v[42:43], v[48:49], v[6:7]
	s_mov_b32 s18, s0
	s_mov_b32 s2, 0x4755a5e
	;; [unrolled: 1-line block ×4, first 2 shown]
	s_waitcnt vmcnt(11)
	v_mul_f64 v[44:45], v[54:55], v[30:31]
	s_waitcnt vmcnt(10)
	v_mul_f64 v[80:81], v[58:59], v[10:11]
	v_mul_f64 v[82:83], v[56:57], v[10:11]
	;; [unrolled: 1-line block ×3, first 2 shown]
	v_fma_f64 v[40:41], v[48:49], v[4:5], v[40:41]
	v_fma_f64 v[42:43], v[50:51], v[4:5], -v[42:43]
	s_load_dwordx2 s[4:5], s[4:5], 0x38
                                        ; implicit-def: $vgpr120_vgpr121
                                        ; implicit-def: $vgpr124_vgpr125
	v_fma_f64 v[44:45], v[52:53], v[28:29], v[44:45]
	v_fma_f64 v[48:49], v[56:57], v[8:9], v[80:81]
	v_fma_f64 v[50:51], v[58:59], v[8:9], -v[82:83]
	v_fma_f64 v[46:47], v[54:55], v[28:29], -v[46:47]
	s_waitcnt vmcnt(8)
	v_mul_f64 v[84:85], v[62:63], v[14:15]
	v_mul_f64 v[86:87], v[60:61], v[14:15]
	v_fma_f64 v[52:53], v[60:61], v[12:13], v[84:85]
	v_fma_f64 v[54:55], v[62:63], v[12:13], -v[86:87]
	s_waitcnt vmcnt(5)
	v_mul_f64 v[56:57], v[66:67], v[38:39]
	v_mul_f64 v[58:59], v[64:65], v[38:39]
	s_waitcnt vmcnt(4)
	v_mul_f64 v[60:61], v[70:71], v[22:23]
	v_mul_f64 v[62:63], v[68:69], v[22:23]
	v_fma_f64 v[56:57], v[64:65], v[36:37], v[56:57]
	v_fma_f64 v[58:59], v[66:67], v[36:37], -v[58:59]
	v_fma_f64 v[60:61], v[68:69], v[20:21], v[60:61]
	v_fma_f64 v[62:63], v[70:71], v[20:21], -v[62:63]
	s_waitcnt vmcnt(1)
	v_mul_f64 v[80:81], v[74:75], v[2:3]
	v_mul_f64 v[82:83], v[72:73], v[2:3]
	s_waitcnt vmcnt(0)
	v_mul_f64 v[84:85], v[78:79], v[26:27]
	v_mul_f64 v[86:87], v[76:77], v[26:27]
	v_fma_f64 v[64:65], v[72:73], v[0:1], v[80:81]
	v_fma_f64 v[66:67], v[74:75], v[0:1], -v[82:83]
	v_fma_f64 v[68:69], v[76:77], v[24:25], v[84:85]
	v_fma_f64 v[70:71], v[78:79], v[24:25], -v[86:87]
	ds_write_b128 v199, v[40:43] offset:5760
	ds_write_b128 v199, v[44:47] offset:8640
	;; [unrolled: 1-line block ×8, first 2 shown]
	s_waitcnt lgkmcnt(0)
	s_barrier
	ds_read_b128 v[40:43], v199
	ds_read_b128 v[44:47], v199 offset:2880
	ds_read_b128 v[48:51], v199 offset:5760
	;; [unrolled: 1-line block ×6, first 2 shown]
	s_waitcnt lgkmcnt(4)
	v_add_f64 v[76:77], v[40:41], v[48:49]
	ds_read_b128 v[68:71], v199 offset:20160
	ds_read_b128 v[72:75], v199 offset:23040
	s_waitcnt lgkmcnt(4)
	v_add_f64 v[80:81], v[52:53], v[56:57]
	v_add_f64 v[90:91], v[48:49], -v[52:53]
	v_add_f64 v[88:89], v[54:55], -v[58:59]
	v_add_f64 v[96:97], v[42:43], v[50:51]
	s_waitcnt lgkmcnt(0)
	v_add_f64 v[92:93], v[72:73], -v[56:57]
	v_add_f64 v[82:83], v[76:77], v[52:53]
	v_add_f64 v[94:95], v[48:49], v[72:73]
	v_add_f64 v[84:85], v[50:51], -v[74:75]
	v_fma_f64 v[80:81], v[80:81], -0.5, v[40:41]
	v_add_f64 v[98:99], v[48:49], -v[72:73]
	v_add_f64 v[48:49], v[52:53], -v[48:49]
	;; [unrolled: 1-line block ×3, first 2 shown]
	v_add_f64 v[90:91], v[90:91], v[92:93]
	v_add_f64 v[82:83], v[82:83], v[56:57]
	v_fma_f64 v[40:41], v[94:95], -0.5, v[40:41]
	v_add_f64 v[92:93], v[54:55], v[58:59]
	v_fma_f64 v[86:87], v[84:85], s[0:1], v[80:81]
	v_fma_f64 v[80:81], v[84:85], s[18:19], v[80:81]
	v_add_f64 v[100:101], v[74:75], -v[58:59]
	ds_read_b128 v[76:79], v199 offset:25920
	s_waitcnt lgkmcnt(0)
	v_add_f64 v[82:83], v[82:83], v[72:73]
	v_fma_f64 v[94:95], v[88:89], s[18:19], v[40:41]
	v_fma_f64 v[92:93], v[92:93], -0.5, v[42:43]
	v_add_f64 v[72:73], v[56:57], -v[72:73]
	v_fma_f64 v[40:41], v[88:89], s[0:1], v[40:41]
	v_fma_f64 v[86:87], v[88:89], s[2:3], v[86:87]
	v_fma_f64 v[80:81], v[88:89], s[20:21], v[80:81]
	v_add_f64 v[88:89], v[96:97], v[54:55]
	v_add_f64 v[56:57], v[50:51], -v[54:55]
	v_fma_f64 v[94:95], v[84:85], s[2:3], v[94:95]
	v_fma_f64 v[96:97], v[98:99], s[18:19], v[92:93]
	v_add_f64 v[48:49], v[48:49], v[72:73]
	v_add_f64 v[72:73], v[50:51], v[74:75]
	v_fma_f64 v[40:41], v[84:85], s[20:21], v[40:41]
	v_fma_f64 v[86:87], v[90:91], s[16:17], v[86:87]
	v_add_f64 v[84:85], v[88:89], v[58:59]
	v_fma_f64 v[90:91], v[90:91], s[16:17], v[80:81]
	v_add_f64 v[80:81], v[64:65], v[68:69]
	;; [unrolled: 2-line block ×3, first 2 shown]
	v_fma_f64 v[42:43], v[72:73], -0.5, v[42:43]
	v_fma_f64 v[72:73], v[48:49], s[16:17], v[40:41]
	v_add_f64 v[40:41], v[44:45], v[60:61]
	v_fma_f64 v[94:95], v[48:49], s[16:17], v[94:95]
	v_add_f64 v[84:85], v[84:85], v[74:75]
	v_fma_f64 v[48:49], v[80:81], -0.5, v[44:45]
	v_add_f64 v[80:81], v[62:63], -v[78:79]
	v_fma_f64 v[100:101], v[56:57], s[16:17], v[88:89]
	v_fma_f64 v[88:89], v[98:99], s[0:1], v[92:93]
	;; [unrolled: 1-line block ×3, first 2 shown]
	v_add_f64 v[40:41], v[40:41], v[64:65]
	v_add_f64 v[50:51], v[54:55], -v[50:51]
	v_add_f64 v[54:55], v[58:59], -v[74:75]
	v_fma_f64 v[42:43], v[52:53], s[18:19], v[42:43]
	v_fma_f64 v[58:59], v[80:81], s[0:1], v[48:49]
	v_add_f64 v[74:75], v[66:67], -v[70:71]
	v_add_f64 v[96:97], v[60:61], -v[64:65]
	v_add_f64 v[102:103], v[76:77], -v[68:69]
	v_fma_f64 v[52:53], v[52:53], s[2:3], v[88:89]
	v_add_f64 v[88:89], v[60:61], v[76:77]
	v_add_f64 v[40:41], v[40:41], v[68:69]
	v_fma_f64 v[92:93], v[98:99], s[20:21], v[92:93]
	v_add_f64 v[50:51], v[50:51], v[54:55]
	v_fma_f64 v[42:43], v[98:99], s[2:3], v[42:43]
	v_fma_f64 v[54:55], v[74:75], s[2:3], v[58:59]
	v_add_f64 v[58:59], v[96:97], v[102:103]
	v_fma_f64 v[98:99], v[56:57], s[16:17], v[52:53]
	v_fma_f64 v[44:45], v[88:89], -0.5, v[44:45]
	v_add_f64 v[52:53], v[66:67], v[70:71]
	v_add_f64 v[88:89], v[40:41], v[76:77]
	;; [unrolled: 1-line block ×3, first 2 shown]
	v_fma_f64 v[48:49], v[80:81], s[18:19], v[48:49]
	v_fma_f64 v[104:105], v[50:51], s[16:17], v[42:43]
	;; [unrolled: 1-line block ×3, first 2 shown]
	v_add_f64 v[54:55], v[60:61], -v[76:77]
	v_add_f64 v[56:57], v[64:65], -v[60:61]
	v_fma_f64 v[52:53], v[52:53], -0.5, v[46:47]
	v_add_f64 v[60:61], v[68:69], -v[76:77]
	v_add_f64 v[64:65], v[64:65], -v[68:69]
	v_fma_f64 v[40:41], v[40:41], -0.5, v[46:47]
	v_fma_f64 v[102:103], v[50:51], s[16:17], v[92:93]
	v_fma_f64 v[50:51], v[74:75], s[18:19], v[44:45]
	;; [unrolled: 1-line block ×3, first 2 shown]
	v_add_f64 v[46:47], v[46:47], v[62:63]
	v_fma_f64 v[48:49], v[74:75], s[20:21], v[48:49]
	v_fma_f64 v[68:69], v[54:55], s[18:19], v[52:53]
	v_add_f64 v[74:75], v[62:63], -v[66:67]
	v_add_f64 v[76:77], v[78:79], -v[70:71]
	v_add_f64 v[56:57], v[56:57], v[60:61]
	v_fma_f64 v[60:61], v[64:65], s[0:1], v[40:41]
	v_add_f64 v[62:63], v[66:67], -v[62:63]
	v_add_f64 v[92:93], v[70:71], -v[78:79]
	v_fma_f64 v[50:51], v[80:81], s[2:3], v[50:51]
	v_fma_f64 v[44:45], v[80:81], s[20:21], v[44:45]
	v_add_f64 v[46:47], v[46:47], v[66:67]
	v_fma_f64 v[52:53], v[54:55], s[0:1], v[52:53]
	v_fma_f64 v[40:41], v[64:65], s[18:19], v[40:41]
	;; [unrolled: 1-line block ×3, first 2 shown]
	v_add_f64 v[68:69], v[74:75], v[76:77]
	v_fma_f64 v[60:61], v[54:55], s[20:21], v[60:61]
	v_add_f64 v[62:63], v[62:63], v[92:93]
	v_fma_f64 v[50:51], v[56:57], s[16:17], v[50:51]
	v_fma_f64 v[56:57], v[56:57], s[16:17], v[44:45]
	v_add_f64 v[44:45], v[46:47], v[70:71]
	v_fma_f64 v[46:47], v[64:65], s[2:3], v[52:53]
	v_fma_f64 v[40:41], v[54:55], s[2:3], v[40:41]
	;; [unrolled: 1-line block ×5, first 2 shown]
	v_mul_f64 v[58:59], v[42:43], s[22:23]
	v_mul_f64 v[42:43], v[42:43], s[20:21]
	v_add_f64 v[64:65], v[44:45], v[78:79]
	v_fma_f64 v[44:45], v[68:69], s[16:17], v[46:47]
	v_fma_f64 v[46:47], v[62:63], s[16:17], v[40:41]
	v_mul_f64 v[62:63], v[56:57], s[16:17]
	v_mul_f64 v[66:67], v[48:49], s[22:23]
	;; [unrolled: 1-line block ×3, first 2 shown]
	v_fma_f64 v[68:69], v[52:53], s[2:3], v[58:59]
	v_mul_f64 v[58:59], v[50:51], s[18:19]
	v_fma_f64 v[78:79], v[52:53], s[22:23], v[42:43]
	v_mul_f64 v[74:75], v[44:45], s[22:23]
	v_mul_f64 v[70:71], v[46:47], s[16:17]
	v_fma_f64 v[62:63], v[46:47], s[0:1], -v[62:63]
	v_fma_f64 v[66:67], v[44:45], s[2:3], -v[66:67]
	v_fma_f64 v[76:77], v[50:51], s[16:17], v[60:61]
	v_add_f64 v[40:41], v[82:83], v[88:89]
	v_fma_f64 v[106:107], v[54:55], s[16:17], v[58:59]
	v_add_f64 v[42:43], v[84:85], v[64:65]
	v_fma_f64 v[74:75], v[48:49], s[20:21], -v[74:75]
	v_fma_f64 v[70:71], v[56:57], s[18:19], -v[70:71]
	v_add_f64 v[44:45], v[86:87], v[68:69]
	v_add_f64 v[46:47], v[100:101], v[78:79]
	v_add_f64 v[48:49], v[94:95], v[76:77]
	v_add_f64 v[52:53], v[72:73], v[62:63]
	v_add_f64 v[50:51], v[102:103], v[106:107]
	v_add_f64 v[56:57], v[90:91], v[66:67]
	v_add_f64 v[58:59], v[98:99], v[74:75]
	v_add_f64 v[54:55], v[104:105], v[70:71]
	v_add_f64 v[60:61], v[82:83], -v[88:89]
	v_add_f64 v[92:93], v[72:73], -v[62:63]
	;; [unrolled: 1-line block ×5, first 2 shown]
	v_mul_lo_u16_e32 v64, 10, v200
	v_add_f64 v[88:89], v[94:95], -v[76:77]
	v_add_f64 v[96:97], v[90:91], -v[66:67]
	;; [unrolled: 1-line block ×3, first 2 shown]
	v_lshlrev_b32_e32 v201, 4, v64
	v_add_f64 v[94:95], v[104:105], -v[70:71]
	v_add_f64 v[98:99], v[98:99], -v[74:75]
	s_barrier
	ds_write_b128 v201, v[40:43]
	ds_write_b128 v201, v[44:47] offset:16
	ds_write_b128 v201, v[48:51] offset:32
	;; [unrolled: 1-line block ×9, first 2 shown]
	s_waitcnt lgkmcnt(0)
	s_barrier
	ds_read_b128 v[84:87], v199
	ds_read_b128 v[116:119], v199 offset:4800
	ds_read_b128 v[112:115], v199 offset:9600
	;; [unrolled: 1-line block ×5, first 2 shown]
	s_movk_i32 s0, 0x78
	v_cmp_gt_u16_e64 s[0:1], s0, v200
	s_and_saveexec_b64 s[2:3], s[0:1]
	s_cbranch_execz .LBB0_3
; %bb.2:
	ds_read_b128 v[80:83], v199 offset:2880
	ds_read_b128 v[88:91], v199 offset:7680
	;; [unrolled: 1-line block ×6, first 2 shown]
.LBB0_3:
	s_or_b64 exec, exec, s[2:3]
	s_movk_i32 s2, 0xcd
	v_mul_lo_u16_sdwa v40, v200, s2 dst_sel:DWORD dst_unused:UNUSED_PAD src0_sel:BYTE_0 src1_sel:DWORD
	v_lshrrev_b16_e32 v169, 11, v40
	v_mul_lo_u16_e32 v40, 10, v169
	v_add_co_u32_e32 v134, vcc, 0xb4, v200
	v_sub_u16_e32 v40, v200, v40
	s_mov_b32 s3, 0xcccd
	v_and_b32_e32 v170, 0xff, v40
	v_mul_u32_u24_sdwa v40, v134, s3 dst_sel:DWORD dst_unused:UNUSED_PAD src0_sel:WORD_0 src1_sel:DWORD
	v_lshrrev_b32_e32 v171, 19, v40
	v_mul_lo_u16_e32 v40, 10, v171
	v_sub_u16_e32 v172, v134, v40
	v_mov_b32_e32 v49, s15
	s_movk_i32 s2, 0x50
	v_mul_lo_u16_e32 v40, 0x50, v172
	v_mov_b32_e32 v48, s14
	v_mov_b32_e32 v41, s15
	v_add_co_u32_e32 v60, vcc, s14, v40
	v_mad_u64_u32 v[62:63], s[2:3], v170, s2, v[48:49]
	v_addc_co_u32_e32 v61, vcc, 0, v41, vcc
	global_load_dwordx4 v[52:55], v[60:61], off offset:16
	global_load_dwordx4 v[44:47], v[60:61], off offset:32
	;; [unrolled: 1-line block ×4, first 2 shown]
	global_load_dwordx4 v[56:59], v[60:61], off
	global_load_dwordx4 v[76:79], v[62:63], off
                                        ; kill: killed $vgpr60 killed $vgpr61
	global_load_dwordx4 v[72:75], v[62:63], off offset:16
	global_load_dwordx4 v[68:71], v[62:63], off offset:32
	;; [unrolled: 1-line block ×3, first 2 shown]
	s_nop 0
	global_load_dwordx4 v[60:63], v[62:63], off offset:64
	s_mov_b32 s16, 0xe8584caa
	s_mov_b32 s17, 0x3febb67a
	;; [unrolled: 1-line block ×4, first 2 shown]
	v_mad_legacy_u16 v202, v171, 60, v172
	s_waitcnt vmcnt(0) lgkmcnt(0)
	s_barrier
	v_mul_f64 v[141:142], v[126:127], v[50:51]
	v_mul_f64 v[143:144], v[124:125], v[50:51]
	;; [unrolled: 1-line block ×20, first 2 shown]
	v_fma_f64 v[128:129], v[92:93], v[52:53], -v[128:129]
	v_fma_f64 v[130:131], v[94:95], v[52:53], v[130:131]
	v_fma_f64 v[94:95], v[96:97], v[44:45], -v[132:133]
	v_fma_f64 v[132:133], v[98:99], v[44:45], v[135:136]
	;; [unrolled: 2-line block ×4, first 2 shown]
	v_fma_f64 v[112:113], v[112:113], v[72:73], -v[153:154]
	v_fma_f64 v[100:101], v[100:101], v[68:69], -v[157:158]
	;; [unrolled: 1-line block ×5, first 2 shown]
	v_fma_f64 v[90:91], v[90:91], v[56:57], v[147:148]
	v_fma_f64 v[116:117], v[116:117], v[76:77], -v[149:150]
	v_fma_f64 v[118:119], v[118:119], v[76:77], v[151:152]
	v_fma_f64 v[114:115], v[114:115], v[72:73], v[155:156]
	;; [unrolled: 1-line block ×5, first 2 shown]
	v_add_f64 v[122:123], v[128:129], v[92:93]
	v_add_f64 v[126:127], v[130:131], v[98:99]
	;; [unrolled: 1-line block ×6, first 2 shown]
	v_add_f64 v[155:156], v[112:113], -v[108:109]
	v_add_f64 v[112:113], v[100:101], v[104:105]
	v_add_f64 v[124:125], v[130:131], -v[98:99]
	v_add_f64 v[135:136], v[128:129], -v[92:93]
	;; [unrolled: 1-line block ×3, first 2 shown]
	v_add_f64 v[147:148], v[114:115], v[110:111]
	v_add_f64 v[151:152], v[86:87], v[114:115]
	;; [unrolled: 1-line block ×3, first 2 shown]
	v_add_f64 v[114:115], v[114:115], -v[110:111]
	v_add_f64 v[157:158], v[102:103], v[106:107]
	v_add_f64 v[159:160], v[100:101], -v[104:105]
	v_add_f64 v[100:101], v[118:119], v[102:103]
	v_add_f64 v[161:162], v[102:103], -v[106:107]
	v_fma_f64 v[102:103], v[122:123], -0.5, v[80:81]
	v_fma_f64 v[122:123], v[126:127], -0.5, v[82:83]
	;; [unrolled: 1-line block ×6, first 2 shown]
	v_add_f64 v[139:140], v[132:133], -v[120:121]
	v_fma_f64 v[145:146], v[147:148], -0.5, v[86:87]
	v_add_f64 v[110:111], v[151:152], v[110:111]
	v_fma_f64 v[116:117], v[157:158], -0.5, v[118:119]
	v_add_f64 v[106:107], v[100:101], v[106:107]
	v_fma_f64 v[84:85], v[124:125], s[16:17], v[102:103]
	v_fma_f64 v[86:87], v[124:125], s[2:3], v[102:103]
	;; [unrolled: 1-line block ×9, first 2 shown]
	v_add_f64 v[108:109], v[149:150], v[108:109]
	v_add_f64 v[104:105], v[153:154], v[104:105]
	v_fma_f64 v[122:123], v[139:140], s[16:17], v[126:127]
	v_fma_f64 v[126:127], v[139:140], s[2:3], v[126:127]
	;; [unrolled: 1-line block ×5, first 2 shown]
	v_add_f64 v[114:115], v[110:111], v[106:107]
	v_add_f64 v[118:119], v[110:111], -v[106:107]
	v_mul_f64 v[106:107], v[141:142], s[2:3]
	v_add_f64 v[112:113], v[108:109], v[104:105]
	v_add_f64 v[116:117], v[108:109], -v[104:105]
	v_fma_f64 v[110:111], v[155:156], s[2:3], v[145:146]
	v_mul_f64 v[104:105], v[137:138], s[16:17]
	v_fma_f64 v[145:146], v[155:156], s[16:17], v[145:146]
	v_mul_f64 v[108:109], v[124:125], s[16:17]
	v_mul_f64 v[151:152], v[139:140], -0.5
	v_mul_f64 v[153:154], v[149:150], -0.5
	v_mul_f64 v[155:156], v[126:127], -0.5
	v_mul_f64 v[157:158], v[122:123], s[2:3]
	v_fma_f64 v[137:138], v[137:138], 0.5, v[106:107]
	v_mul_f64 v[159:160], v[135:136], -0.5
	v_fma_f64 v[141:142], v[141:142], 0.5, v[104:105]
	v_fma_f64 v[104:105], v[122:123], 0.5, v[108:109]
	v_fma_f64 v[149:150], v[149:150], s[16:17], v[151:152]
	v_fma_f64 v[151:152], v[139:140], s[2:3], v[153:154]
	;; [unrolled: 1-line block ×3, first 2 shown]
	v_fma_f64 v[108:109], v[124:125], 0.5, v[157:158]
	v_add_f64 v[124:125], v[110:111], v[137:138]
	v_add_f64 v[137:138], v[110:111], -v[137:138]
	v_fma_f64 v[110:111], v[126:127], s[2:3], v[159:160]
	v_add_f64 v[122:123], v[143:144], v[141:142]
	v_add_f64 v[135:136], v[143:144], -v[141:142]
	v_add_f64 v[139:140], v[147:148], v[149:150]
	v_add_f64 v[141:142], v[145:146], v[151:152]
	v_add_f64 v[143:144], v[147:148], -v[149:150]
	v_add_f64 v[145:146], v[145:146], -v[151:152]
	;; [unrolled: 1-line block ×6, first 2 shown]
	v_mul_u32_u24_e32 v126, 60, v169
	v_add_lshl_u32 v203, v126, v170, 4
	ds_write_b128 v203, v[112:115]
	ds_write_b128 v203, v[122:125] offset:160
	ds_write_b128 v203, v[139:142] offset:320
	;; [unrolled: 1-line block ×5, first 2 shown]
	s_and_saveexec_b64 s[2:3], s[0:1]
	s_cbranch_execz .LBB0_5
; %bb.4:
	v_add_f64 v[82:83], v[82:83], v[130:131]
	v_add_f64 v[90:91], v[90:91], v[132:133]
	;; [unrolled: 1-line block ×12, first 2 shown]
	v_lshlrev_b32_e32 v84, 4, v202
	v_add_f64 v[92:93], v[94:95], -v[90:91]
	v_add_f64 v[96:97], v[94:95], v[90:91]
	v_add_f64 v[94:95], v[98:99], v[112:113]
	v_add_f64 v[90:91], v[98:99], -v[112:113]
	ds_write_b128 v84, v[152:155] offset:640
	ds_write_b128 v84, v[86:89] offset:160
	;; [unrolled: 1-line block ×3, first 2 shown]
	ds_write_b128 v84, v[94:97]
	ds_write_b128 v84, v[90:93] offset:480
	ds_write_b128 v84, v[148:151] offset:800
.LBB0_5:
	s_or_b64 exec, exec, s[2:3]
	s_movk_i32 s2, 0x89
	v_mul_lo_u16_sdwa v80, v200, s2 dst_sel:DWORD dst_unused:UNUSED_PAD src0_sel:BYTE_0 src1_sel:DWORD
	v_lshrrev_b16_e32 v147, 13, v80
	v_mul_lo_u16_e32 v80, 60, v147
	v_sub_u16_e32 v80, v200, v80
	v_and_b32_e32 v198, 0xff, v80
	v_mov_b32_e32 v81, s15
	s_movk_i32 s2, 0x90
	v_mov_b32_e32 v80, s14
	v_mad_u64_u32 v[112:113], s[2:3], v198, s2, v[80:81]
	s_waitcnt lgkmcnt(0)
	s_barrier
	global_load_dwordx4 v[96:99], v[112:113], off offset:800
	global_load_dwordx4 v[88:91], v[112:113], off offset:816
	;; [unrolled: 1-line block ×9, first 2 shown]
	ds_read_b128 v[112:115], v199
	ds_read_b128 v[116:119], v199 offset:2880
	ds_read_b128 v[124:127], v199 offset:5760
	;; [unrolled: 1-line block ×9, first 2 shown]
	s_mov_b32 s2, 0x134454ff
	s_mov_b32 s3, 0x3fee6f0e
	s_mov_b32 s21, 0xbfee6f0e
	s_mov_b32 s20, s2
	s_mov_b32 s16, 0x4755a5e
	s_mov_b32 s17, 0x3fe2cf23
	s_mov_b32 s23, 0xbfe2cf23
	s_mov_b32 s22, s16
	s_mov_b32 s18, 0x372fe950
	s_mov_b32 s19, 0x3fd3c6ef
	s_mov_b32 s24, 0x9b97f4a8
	s_mov_b32 s25, 0x3fe9e377
	s_waitcnt vmcnt(0) lgkmcnt(0)
	s_barrier
	v_mul_f64 v[132:133], v[118:119], v[98:99]
	v_mul_f64 v[170:171], v[126:127], v[90:91]
	;; [unrolled: 1-line block ×17, first 2 shown]
	v_fma_f64 v[116:117], v[116:117], v[96:97], -v[132:133]
	v_fma_f64 v[124:125], v[124:125], v[88:89], -v[170:171]
	v_fma_f64 v[126:127], v[126:127], v[88:89], v[172:173]
	v_fma_f64 v[132:133], v[135:136], v[80:81], -v[178:179]
	v_fma_f64 v[135:136], v[137:138], v[80:81], v[180:181]
	v_fma_f64 v[137:138], v[139:140], v[108:109], -v[182:183]
	v_fma_f64 v[139:140], v[141:142], v[108:109], v[184:185]
	v_fma_f64 v[141:142], v[143:144], v[100:101], -v[186:187]
	v_fma_f64 v[143:144], v[145:146], v[100:101], v[188:189]
	v_fma_f64 v[160:161], v[160:161], v[104:105], -v[194:195]
	v_mul_f64 v[192:193], v[156:157], v[94:95]
	v_fma_f64 v[118:119], v[118:119], v[96:97], v[168:169]
	v_fma_f64 v[128:129], v[128:129], v[84:85], -v[174:175]
	v_fma_f64 v[130:131], v[130:131], v[84:85], v[176:177]
	v_fma_f64 v[145:146], v[162:163], v[104:105], v[204:205]
	v_fma_f64 v[156:157], v[156:157], v[92:93], -v[190:191]
	v_fma_f64 v[162:163], v[164:165], v[120:121], -v[206:207]
	v_fma_f64 v[164:165], v[166:167], v[120:121], v[208:209]
	v_add_f64 v[166:167], v[112:113], v[124:125]
	v_add_f64 v[168:169], v[132:133], v[141:142]
	v_add_f64 v[174:175], v[124:125], -v[132:133]
	v_add_f64 v[176:177], v[160:161], -v[141:142]
	v_add_f64 v[178:179], v[124:125], v[160:161]
	v_add_f64 v[184:185], v[114:115], v[126:127]
	;; [unrolled: 1-line block ×3, first 2 shown]
	v_add_f64 v[170:171], v[126:127], -v[145:146]
	v_add_f64 v[172:173], v[135:136], -v[143:144]
	;; [unrolled: 1-line block ×7, first 2 shown]
	v_add_f64 v[194:195], v[126:127], v[145:146]
	v_add_f64 v[126:127], v[135:136], -v[126:127]
	v_add_f64 v[208:209], v[137:138], v[156:157]
	v_add_f64 v[132:133], v[166:167], v[132:133]
	v_fma_f64 v[166:167], v[168:169], -0.5, v[112:113]
	v_add_f64 v[168:169], v[174:175], v[176:177]
	v_fma_f64 v[112:113], v[178:179], -0.5, v[112:113]
	;; [unrolled: 2-line block ×3, first 2 shown]
	v_fma_f64 v[158:159], v[158:159], v[92:93], v[192:193]
	v_add_f64 v[192:193], v[145:146], -v[143:144]
	v_add_f64 v[204:205], v[143:144], -v[145:146]
	v_add_f64 v[206:207], v[116:117], v[128:129]
	v_add_f64 v[210:211], v[130:131], -v[164:165]
	v_add_f64 v[174:175], v[180:181], v[182:183]
	v_fma_f64 v[114:115], v[194:195], -0.5, v[114:115]
	v_fma_f64 v[182:183], v[208:209], -0.5, v[116:117]
	v_add_f64 v[132:133], v[132:133], v[141:142]
	v_fma_f64 v[141:142], v[170:171], s[2:3], v[166:167]
	v_fma_f64 v[166:167], v[170:171], s[20:21], v[166:167]
	;; [unrolled: 1-line block ×4, first 2 shown]
	v_add_f64 v[135:136], v[135:136], v[143:144]
	v_fma_f64 v[143:144], v[124:125], s[20:21], v[176:177]
	v_fma_f64 v[176:177], v[124:125], s[2:3], v[176:177]
	v_add_f64 v[212:213], v[139:140], -v[158:159]
	v_add_f64 v[214:215], v[128:129], -v[137:138]
	;; [unrolled: 1-line block ×3, first 2 shown]
	v_add_f64 v[218:219], v[128:129], v[162:163]
	v_add_f64 v[178:179], v[190:191], v[192:193]
	;; [unrolled: 1-line block ×3, first 2 shown]
	v_fma_f64 v[186:187], v[188:189], s[2:3], v[114:115]
	v_fma_f64 v[114:115], v[188:189], s[20:21], v[114:115]
	;; [unrolled: 1-line block ×3, first 2 shown]
	v_add_f64 v[132:133], v[132:133], v[160:161]
	v_fma_f64 v[141:142], v[172:173], s[16:17], v[141:142]
	v_fma_f64 v[160:161], v[172:173], s[22:23], v[166:167]
	;; [unrolled: 1-line block ×5, first 2 shown]
	v_add_f64 v[145:146], v[135:136], v[145:146]
	v_fma_f64 v[135:136], v[188:189], s[16:17], v[176:177]
	v_fma_f64 v[170:171], v[124:125], s[22:23], v[186:187]
	;; [unrolled: 1-line block ×7, first 2 shown]
	v_add_f64 v[112:113], v[126:127], v[204:205]
	v_fma_f64 v[174:175], v[178:179], s[18:19], v[135:136]
	v_fma_f64 v[116:117], v[218:219], -0.5, v[116:117]
	v_fma_f64 v[114:115], v[124:125], s[16:17], v[114:115]
	v_add_f64 v[124:125], v[180:181], v[156:157]
	v_fma_f64 v[126:127], v[212:213], s[16:17], v[190:191]
	v_add_f64 v[135:136], v[214:215], v[216:217]
	v_add_f64 v[143:144], v[139:140], v[158:159]
	v_fma_f64 v[170:171], v[112:113], s[18:19], v[170:171]
	v_fma_f64 v[176:177], v[210:211], s[20:21], v[182:183]
	v_fma_f64 v[178:179], v[212:213], s[20:21], v[116:117]
	v_fma_f64 v[180:181], v[112:113], s[18:19], v[114:115]
	v_add_f64 v[182:183], v[124:125], v[162:163]
	v_add_f64 v[112:113], v[130:131], v[164:165]
	v_fma_f64 v[114:115], v[135:136], s[18:19], v[126:127]
	v_fma_f64 v[124:125], v[143:144], -0.5, v[118:119]
	v_add_f64 v[126:127], v[128:129], -v[162:163]
	v_fma_f64 v[143:144], v[212:213], s[22:23], v[176:177]
	v_fma_f64 v[176:177], v[210:211], s[16:17], v[178:179]
	v_add_f64 v[178:179], v[118:119], v[130:131]
	v_add_f64 v[184:185], v[137:138], -v[156:157]
	v_fma_f64 v[112:113], v[112:113], -0.5, v[118:119]
	v_add_f64 v[118:119], v[137:138], -v[128:129]
	v_add_f64 v[128:129], v[156:157], -v[162:163]
	v_fma_f64 v[137:138], v[126:127], s[20:21], v[124:125]
	v_add_f64 v[156:157], v[130:131], -v[139:140]
	v_add_f64 v[162:163], v[164:165], -v[158:159]
	v_fma_f64 v[116:117], v[212:213], s[2:3], v[116:117]
	v_fma_f64 v[124:125], v[126:127], s[2:3], v[124:125]
	v_add_f64 v[178:179], v[178:179], v[139:140]
	v_fma_f64 v[186:187], v[184:185], s[2:3], v[112:113]
	v_add_f64 v[130:131], v[139:140], -v[130:131]
	v_fma_f64 v[137:138], v[184:185], s[22:23], v[137:138]
	v_add_f64 v[139:140], v[158:159], -v[164:165]
	v_add_f64 v[156:157], v[156:157], v[162:163]
	v_fma_f64 v[112:113], v[184:185], s[20:21], v[112:113]
	v_add_f64 v[118:119], v[118:119], v[128:129]
	v_fma_f64 v[116:117], v[210:211], s[22:23], v[116:117]
	v_fma_f64 v[124:125], v[184:185], s[16:17], v[124:125]
	v_fma_f64 v[128:129], v[126:127], s[22:23], v[186:187]
	v_add_f64 v[130:131], v[130:131], v[139:140]
	v_fma_f64 v[137:138], v[156:157], s[18:19], v[137:138]
	v_fma_f64 v[112:113], v[126:127], s[16:17], v[112:113]
	;; [unrolled: 1-line block ×6, first 2 shown]
	v_add_f64 v[139:140], v[178:179], v[158:159]
	v_fma_f64 v[128:129], v[130:131], s[18:19], v[128:129]
	v_mul_f64 v[124:125], v[137:138], s[16:17]
	v_fma_f64 v[130:131], v[130:131], s[18:19], v[112:113]
	v_mul_f64 v[156:157], v[126:127], s[24:25]
	v_add_f64 v[112:113], v[132:133], v[182:183]
	v_mul_f64 v[143:144], v[118:119], s[18:19]
	v_mul_f64 v[176:177], v[116:117], s[24:25]
	v_add_f64 v[158:159], v[139:140], v[164:165]
	v_mul_f64 v[139:140], v[128:129], s[2:3]
	v_fma_f64 v[162:163], v[114:115], s[24:25], v[124:125]
	v_mul_f64 v[114:115], v[114:115], s[22:23]
	v_mul_f64 v[124:125], v[135:136], s[20:21]
	;; [unrolled: 1-line block ×3, first 2 shown]
	v_fma_f64 v[184:185], v[130:131], s[2:3], -v[143:144]
	v_fma_f64 v[156:157], v[116:117], s[16:17], -v[156:157]
	;; [unrolled: 1-line block ×3, first 2 shown]
	v_fma_f64 v[178:179], v[135:136], s[18:19], v[139:140]
	v_add_f64 v[116:117], v[141:142], v[162:163]
	v_fma_f64 v[186:187], v[137:138], s[24:25], v[114:115]
	v_fma_f64 v[188:189], v[128:129], s[18:19], v[124:125]
	v_fma_f64 v[190:191], v[118:119], s[20:21], -v[164:165]
	v_add_f64 v[114:115], v[145:146], v[158:159]
	v_add_f64 v[128:129], v[166:167], v[184:185]
	;; [unrolled: 1-line block ×8, first 2 shown]
	v_add_f64 v[139:140], v[132:133], -v[182:183]
	v_add_f64 v[143:144], v[141:142], -v[162:163]
	;; [unrolled: 1-line block ×4, first 2 shown]
	v_mul_u32_u24_e32 v132, 0x258, v147
	v_add_f64 v[160:161], v[160:161], -v[178:179]
	v_add_f64 v[164:165], v[166:167], -v[184:185]
	;; [unrolled: 1-line block ×4, first 2 shown]
	v_add_lshl_u32 v204, v132, v198, 4
	v_add_f64 v[156:157], v[168:169], -v[156:157]
	v_add_f64 v[158:159], v[174:175], -v[176:177]
	ds_write_b128 v204, v[112:115]
	ds_write_b128 v204, v[116:119] offset:960
	ds_write_b128 v204, v[124:127] offset:1920
	;; [unrolled: 1-line block ×9, first 2 shown]
	s_waitcnt lgkmcnt(0)
	s_barrier
	ds_read_b128 v[168:171], v199
	ds_read_b128 v[164:167], v199 offset:2880
	ds_read_b128 v[184:187], v199 offset:19200
	ds_read_b128 v[176:179], v199 offset:22080
	ds_read_b128 v[192:195], v199 offset:9600
	ds_read_b128 v[160:163], v199 offset:5760
	ds_read_b128 v[188:191], v199 offset:12480
	ds_read_b128 v[180:183], v199 offset:15360
	ds_read_b128 v[172:175], v199 offset:24960
	v_cmp_gt_u16_e64 s[2:3], 60, v200
	s_and_saveexec_b64 s[16:17], s[2:3]
	s_cbranch_execz .LBB0_7
; %bb.6:
	ds_read_b128 v[156:159], v199 offset:8640
	ds_read_b128 v[152:155], v199 offset:18240
	;; [unrolled: 1-line block ×3, first 2 shown]
.LBB0_7:
	s_or_b64 exec, exec, s[16:17]
	s_movk_i32 s12, 0x21c
	v_lshlrev_b32_e32 v116, 5, v200
	v_add_co_u32_e32 v117, vcc, s12, v200
	v_addc_co_u32_e64 v118, s[16:17], 0, 0, vcc
	v_mov_b32_e32 v119, s15
	v_add_co_u32_e32 v114, vcc, s14, v116
	v_addc_co_u32_e32 v115, vcc, 0, v119, vcc
	s_movk_i32 s12, 0x24e0
	v_add_co_u32_e32 v112, vcc, s12, v114
	v_addc_co_u32_e32 v113, vcc, 0, v115, vcc
	s_movk_i32 s15, 0x2000
	v_add_co_u32_e32 v114, vcc, s15, v114
	v_addc_co_u32_e32 v115, vcc, 0, v115, vcc
	global_load_dwordx4 v[124:127], v[114:115], off offset:1248
	global_load_dwordx4 v[128:131], v[112:113], off offset:16
	v_lshlrev_b32_e32 v112, 5, v134
	v_add_co_u32_e32 v114, vcc, s14, v112
	v_addc_co_u32_e32 v115, vcc, 0, v119, vcc
	v_add_co_u32_e32 v112, vcc, s12, v114
	v_addc_co_u32_e32 v113, vcc, 0, v115, vcc
	;; [unrolled: 2-line block ×3, first 2 shown]
	global_load_dwordx4 v[132:135], v[114:115], off offset:1248
	global_load_dwordx4 v[136:139], v[112:113], off offset:16
	v_add_u32_e32 v112, 0x2d00, v116
	v_add_co_u32_e32 v114, vcc, s14, v112
	v_addc_co_u32_e32 v115, vcc, 0, v119, vcc
	v_add_co_u32_e32 v112, vcc, s12, v114
	v_addc_co_u32_e32 v113, vcc, 0, v115, vcc
	;; [unrolled: 2-line block ×3, first 2 shown]
	s_movk_i32 s16, 0xffc4
	global_load_dwordx4 v[144:147], v[114:115], off offset:1248
	global_load_dwordx4 v[140:143], v[112:113], off offset:16
	v_add_co_u32_e32 v112, vcc, s16, v200
	v_addc_co_u32_e64 v113, s[16:17], 0, -1, vcc
	v_cndmask_b32_e64 v113, v113, v118, s[2:3]
	v_cndmask_b32_e64 v112, v112, v117, s[2:3]
	v_lshlrev_b64 v[112:113], 5, v[112:113]
	s_mov_b32 s17, 0xbfebb67a
	v_add_co_u32_e32 v116, vcc, s14, v112
	v_addc_co_u32_e32 v117, vcc, v119, v113, vcc
	v_add_co_u32_e32 v112, vcc, s15, v116
	v_addc_co_u32_e32 v113, vcc, 0, v117, vcc
	global_load_dwordx4 v[112:115], v[112:113], off offset:1248
	v_add_co_u32_e32 v116, vcc, s12, v116
	v_addc_co_u32_e32 v117, vcc, 0, v117, vcc
	global_load_dwordx4 v[116:119], v[116:117], off offset:16
	s_mov_b32 s14, 0xe8584caa
	s_mov_b32 s15, 0x3febb67a
	;; [unrolled: 1-line block ×3, first 2 shown]
	s_waitcnt vmcnt(7) lgkmcnt(4)
	v_mul_f64 v[205:206], v[194:195], v[126:127]
	s_waitcnt vmcnt(6)
	v_mul_f64 v[209:210], v[186:187], v[130:131]
	v_mul_f64 v[207:208], v[192:193], v[126:127]
	;; [unrolled: 1-line block ×3, first 2 shown]
	v_fma_f64 v[192:193], v[192:193], v[124:125], -v[205:206]
	v_fma_f64 v[184:185], v[184:185], v[128:129], -v[209:210]
	v_fma_f64 v[194:195], v[194:195], v[124:125], v[207:208]
	v_fma_f64 v[207:208], v[186:187], v[128:129], v[211:212]
	s_waitcnt vmcnt(5) lgkmcnt(2)
	v_mul_f64 v[213:214], v[190:191], v[134:135]
	s_waitcnt vmcnt(4)
	v_mul_f64 v[217:218], v[178:179], v[138:139]
	v_mul_f64 v[219:220], v[176:177], v[138:139]
	v_add_f64 v[186:187], v[192:193], v[184:185]
	v_mul_f64 v[215:216], v[188:189], v[134:135]
	v_fma_f64 v[188:189], v[188:189], v[132:133], -v[213:214]
	v_fma_f64 v[211:212], v[176:177], v[136:137], -v[217:218]
	v_fma_f64 v[213:214], v[178:179], v[136:137], v[219:220]
	v_add_f64 v[178:179], v[168:169], v[192:193]
	v_fma_f64 v[186:187], v[186:187], -0.5, v[168:169]
	v_fma_f64 v[190:191], v[190:191], v[132:133], v[215:216]
	s_waitcnt vmcnt(3) lgkmcnt(1)
	v_mul_f64 v[221:222], v[182:183], v[146:147]
	s_waitcnt vmcnt(2) lgkmcnt(0)
	v_mul_f64 v[225:226], v[174:175], v[142:143]
	v_mul_f64 v[227:228], v[172:173], v[142:143]
	;; [unrolled: 1-line block ×3, first 2 shown]
	v_add_f64 v[178:179], v[178:179], v[184:185]
	v_fma_f64 v[215:216], v[180:181], v[144:145], -v[221:222]
	v_fma_f64 v[219:220], v[172:173], v[140:141], -v[225:226]
	v_add_f64 v[180:181], v[194:195], -v[207:208]
	v_fma_f64 v[221:222], v[174:175], v[140:141], v[227:228]
	v_fma_f64 v[217:218], v[182:183], v[144:145], v[223:224]
	s_waitcnt vmcnt(1)
	v_mul_f64 v[229:230], v[154:155], v[114:115]
	v_mul_f64 v[205:206], v[152:153], v[114:115]
	v_fma_f64 v[182:183], v[180:181], s[14:15], v[186:187]
	v_fma_f64 v[186:187], v[180:181], s[16:17], v[186:187]
	s_waitcnt vmcnt(0)
	v_mul_f64 v[209:210], v[150:151], v[118:119]
	v_mul_f64 v[231:232], v[148:149], v[118:119]
	v_fma_f64 v[168:169], v[152:153], v[112:113], -v[229:230]
	v_add_f64 v[152:153], v[194:195], v[207:208]
	v_fma_f64 v[172:173], v[154:155], v[112:113], v[205:206]
	v_add_f64 v[154:155], v[192:193], -v[184:185]
	v_add_f64 v[192:193], v[164:165], v[188:189]
	v_fma_f64 v[174:175], v[148:149], v[116:117], -v[209:210]
	v_fma_f64 v[176:177], v[150:151], v[116:117], v[231:232]
	v_add_f64 v[148:149], v[188:189], v[211:212]
	v_add_f64 v[150:151], v[170:171], v[194:195]
	v_fma_f64 v[152:153], v[152:153], -0.5, v[170:171]
	v_add_f64 v[170:171], v[190:191], v[213:214]
	v_add_f64 v[194:195], v[190:191], -v[213:214]
	v_add_f64 v[223:224], v[168:169], -v[174:175]
	v_fma_f64 v[148:149], v[148:149], -0.5, v[164:165]
	v_add_f64 v[180:181], v[150:151], v[207:208]
	v_fma_f64 v[184:185], v[154:155], s[16:17], v[152:153]
	v_add_f64 v[150:151], v[166:167], v[190:191]
	v_add_f64 v[207:208], v[188:189], -v[211:212]
	v_fma_f64 v[188:189], v[154:155], s[14:15], v[152:153]
	v_add_f64 v[152:153], v[160:161], v[215:216]
	v_fma_f64 v[170:171], v[170:171], -0.5, v[166:167]
	v_fma_f64 v[190:191], v[194:195], s[14:15], v[148:149]
	v_fma_f64 v[205:206], v[194:195], s[16:17], v[148:149]
	v_add_f64 v[148:149], v[215:216], v[219:220]
	v_add_f64 v[166:167], v[150:151], v[213:214]
	;; [unrolled: 1-line block ×7, first 2 shown]
	v_fma_f64 v[192:193], v[207:208], s[16:17], v[170:171]
	v_fma_f64 v[207:208], v[207:208], s[14:15], v[170:171]
	v_fma_f64 v[148:149], v[148:149], -0.5, v[160:161]
	v_add_f64 v[170:171], v[217:218], -v[221:222]
	v_add_f64 v[194:195], v[162:163], v[217:218]
	v_fma_f64 v[150:151], v[150:151], -0.5, v[162:163]
	v_add_f64 v[215:216], v[215:216], -v[219:220]
	v_fma_f64 v[154:155], v[154:155], -0.5, v[156:157]
	v_add_f64 v[217:218], v[172:173], -v[176:177]
	v_fma_f64 v[219:220], v[152:153], -0.5, v[158:159]
	v_fma_f64 v[160:161], v[170:171], s[14:15], v[148:149]
	v_fma_f64 v[213:214], v[170:171], s[16:17], v[148:149]
	v_add_f64 v[211:212], v[194:195], v[221:222]
	v_fma_f64 v[162:163], v[215:216], s[16:17], v[150:151]
	v_fma_f64 v[215:216], v[215:216], s[14:15], v[150:151]
	;; [unrolled: 1-line block ×6, first 2 shown]
	ds_write_b128 v199, v[178:181]
	ds_write_b128 v199, v[182:185] offset:9600
	ds_write_b128 v199, v[186:189] offset:19200
	;; [unrolled: 1-line block ×8, first 2 shown]
	s_and_saveexec_b64 s[14:15], s[2:3]
	s_cbranch_execz .LBB0_9
; %bb.8:
	v_add_f64 v[158:159], v[158:159], v[172:173]
	v_add_f64 v[156:157], v[156:157], v[168:169]
	;; [unrolled: 1-line block ×4, first 2 shown]
	ds_write_b128 v199, v[152:155] offset:18240
	ds_write_b128 v199, v[156:159] offset:8640
	;; [unrolled: 1-line block ×3, first 2 shown]
.LBB0_9:
	s_or_b64 exec, exec, s[14:15]
	v_mov_b32_e32 v156, s13
	v_addc_co_u32_e64 v170, vcc, 0, v156, s[6:7]
	s_movk_i32 s6, 0x7080
	v_add_co_u32_e32 v168, vcc, s6, v197
	v_addc_co_u32_e32 v169, vcc, 0, v170, vcc
	s_movk_i32 s6, 0x7000
	v_add_co_u32_e32 v160, vcc, s6, v197
	v_addc_co_u32_e32 v161, vcc, 0, v170, vcc
	s_waitcnt lgkmcnt(0)
	s_barrier
	global_load_dwordx4 v[160:163], v[160:161], off offset:128
	ds_read_b128 v[156:159], v199
	s_mov_b32 s6, 0x8000
	s_mov_b32 s18, 0x134454ff
	;; [unrolled: 1-line block ×12, first 2 shown]
	s_waitcnt vmcnt(0) lgkmcnt(0)
	v_mul_f64 v[164:165], v[158:159], v[162:163]
	v_fma_f64 v[164:165], v[156:157], v[160:161], -v[164:165]
	v_mul_f64 v[156:157], v[156:157], v[162:163]
	v_fma_f64 v[166:167], v[158:159], v[160:161], v[156:157]
	global_load_dwordx4 v[160:163], v[168:169], off offset:2880
	ds_read_b128 v[156:159], v199 offset:2880
	ds_write_b128 v199, v[164:167]
	s_waitcnt vmcnt(0) lgkmcnt(1)
	v_mul_f64 v[164:165], v[158:159], v[162:163]
	v_fma_f64 v[164:165], v[156:157], v[160:161], -v[164:165]
	v_mul_f64 v[156:157], v[156:157], v[162:163]
	v_fma_f64 v[166:167], v[158:159], v[160:161], v[156:157]
	v_add_co_u32_e32 v160, vcc, s6, v197
	v_addc_co_u32_e32 v161, vcc, 0, v170, vcc
	global_load_dwordx4 v[160:163], v[160:161], off offset:1792
	ds_read_b128 v[156:159], v199 offset:5760
	s_mov_b32 s6, 0x9000
	ds_write_b128 v199, v[164:167] offset:2880
	v_add_co_u32_e32 v168, vcc, s6, v197
	v_addc_co_u32_e32 v169, vcc, 0, v170, vcc
	s_mov_b32 s6, 0xa000
	s_waitcnt vmcnt(0) lgkmcnt(1)
	v_mul_f64 v[164:165], v[158:159], v[162:163]
	v_fma_f64 v[164:165], v[156:157], v[160:161], -v[164:165]
	v_mul_f64 v[156:157], v[156:157], v[162:163]
	v_fma_f64 v[166:167], v[158:159], v[160:161], v[156:157]
	global_load_dwordx4 v[160:163], v[168:169], off offset:576
	ds_read_b128 v[156:159], v199 offset:8640
	ds_write_b128 v199, v[164:167] offset:5760
	s_waitcnt vmcnt(0) lgkmcnt(1)
	v_mul_f64 v[164:165], v[158:159], v[162:163]
	v_fma_f64 v[164:165], v[156:157], v[160:161], -v[164:165]
	v_mul_f64 v[156:157], v[156:157], v[162:163]
	v_fma_f64 v[166:167], v[158:159], v[160:161], v[156:157]
	global_load_dwordx4 v[160:163], v[168:169], off offset:3456
	ds_read_b128 v[156:159], v199 offset:11520
	ds_write_b128 v199, v[164:167] offset:8640
	s_waitcnt vmcnt(0) lgkmcnt(1)
	v_mul_f64 v[164:165], v[158:159], v[162:163]
	v_fma_f64 v[164:165], v[156:157], v[160:161], -v[164:165]
	v_mul_f64 v[156:157], v[156:157], v[162:163]
	v_fma_f64 v[166:167], v[158:159], v[160:161], v[156:157]
	v_add_co_u32_e32 v160, vcc, s6, v197
	v_addc_co_u32_e32 v161, vcc, 0, v170, vcc
	global_load_dwordx4 v[160:163], v[160:161], off offset:2240
	ds_read_b128 v[156:159], v199 offset:14400
	s_mov_b32 s6, 0xb000
	ds_write_b128 v199, v[164:167] offset:11520
	v_add_co_u32_e32 v168, vcc, s6, v197
	v_addc_co_u32_e32 v169, vcc, 0, v170, vcc
	s_mov_b32 s6, 0xc000
	s_waitcnt vmcnt(0) lgkmcnt(1)
	v_mul_f64 v[164:165], v[158:159], v[162:163]
	v_fma_f64 v[164:165], v[156:157], v[160:161], -v[164:165]
	v_mul_f64 v[156:157], v[156:157], v[162:163]
	v_fma_f64 v[166:167], v[158:159], v[160:161], v[156:157]
	global_load_dwordx4 v[160:163], v[168:169], off offset:1024
	ds_read_b128 v[156:159], v199 offset:17280
	ds_write_b128 v199, v[164:167] offset:14400
	s_waitcnt vmcnt(0) lgkmcnt(1)
	v_mul_f64 v[164:165], v[158:159], v[162:163]
	v_fma_f64 v[164:165], v[156:157], v[160:161], -v[164:165]
	v_mul_f64 v[156:157], v[156:157], v[162:163]
	v_fma_f64 v[166:167], v[158:159], v[160:161], v[156:157]
	global_load_dwordx4 v[160:163], v[168:169], off offset:3904
	ds_read_b128 v[156:159], v199 offset:20160
	ds_write_b128 v199, v[164:167] offset:17280
	s_waitcnt vmcnt(0) lgkmcnt(1)
	v_mul_f64 v[164:165], v[158:159], v[162:163]
	v_fma_f64 v[164:165], v[156:157], v[160:161], -v[164:165]
	v_mul_f64 v[156:157], v[156:157], v[162:163]
	v_fma_f64 v[166:167], v[158:159], v[160:161], v[156:157]
	v_add_co_u32_e32 v160, vcc, s6, v197
	v_addc_co_u32_e32 v161, vcc, 0, v170, vcc
	global_load_dwordx4 v[160:163], v[160:161], off offset:2688
	ds_read_b128 v[156:159], v199 offset:23040
	s_mov_b32 s6, 0xd000
	ds_write_b128 v199, v[164:167] offset:20160
	s_waitcnt vmcnt(0) lgkmcnt(1)
	v_mul_f64 v[164:165], v[158:159], v[162:163]
	v_fma_f64 v[164:165], v[156:157], v[160:161], -v[164:165]
	v_mul_f64 v[156:157], v[156:157], v[162:163]
	v_fma_f64 v[166:167], v[158:159], v[160:161], v[156:157]
	v_add_co_u32_e32 v160, vcc, s6, v197
	v_addc_co_u32_e32 v161, vcc, 0, v170, vcc
	global_load_dwordx4 v[160:163], v[160:161], off offset:1472
	ds_read_b128 v[156:159], v199 offset:25920
	s_mov_b32 s6, s16
	ds_write_b128 v199, v[164:167] offset:23040
	s_waitcnt vmcnt(0) lgkmcnt(1)
	v_mul_f64 v[164:165], v[158:159], v[162:163]
	v_fma_f64 v[164:165], v[156:157], v[160:161], -v[164:165]
	v_mul_f64 v[156:157], v[156:157], v[162:163]
	v_fma_f64 v[166:167], v[158:159], v[160:161], v[156:157]
	ds_write_b128 v199, v[164:167] offset:25920
	s_waitcnt lgkmcnt(0)
	s_barrier
	ds_read_b128 v[190:193], v199
	ds_read_b128 v[160:163], v199 offset:2880
	ds_read_b128 v[205:208], v199 offset:5760
	;; [unrolled: 1-line block ×9, first 2 shown]
	s_waitcnt lgkmcnt(5)
	v_add_f64 v[184:185], v[205:206], -v[209:210]
	s_waitcnt lgkmcnt(3)
	v_add_f64 v[178:179], v[209:210], v[213:214]
	v_add_f64 v[186:187], v[211:212], -v[215:216]
	s_waitcnt lgkmcnt(1)
	v_add_f64 v[182:183], v[207:208], -v[219:220]
	v_add_f64 v[188:189], v[217:218], -v[213:214]
	v_add_f64 v[176:177], v[190:191], v[205:206]
	v_add_f64 v[194:195], v[213:214], -v[217:218]
	v_add_f64 v[197:198], v[209:210], -v[213:214]
	s_waitcnt lgkmcnt(0)
	v_fma_f64 v[178:179], v[178:179], -0.5, v[190:191]
	s_barrier
	v_add_f64 v[184:185], v[184:185], v[188:189]
	v_add_f64 v[176:177], v[176:177], v[209:210]
	v_fma_f64 v[180:181], v[182:183], s[18:19], v[178:179]
	v_fma_f64 v[178:179], v[182:183], s[12:13], v[178:179]
	v_add_f64 v[176:177], v[176:177], v[213:214]
	v_add_f64 v[213:214], v[156:157], -v[164:165]
	v_fma_f64 v[180:181], v[186:187], s[16:17], v[180:181]
	v_fma_f64 v[178:179], v[186:187], s[6:7], v[178:179]
	v_add_f64 v[176:177], v[176:177], v[217:218]
	v_fma_f64 v[180:181], v[184:185], s[14:15], v[180:181]
	v_fma_f64 v[178:179], v[184:185], s[14:15], v[178:179]
	v_add_f64 v[184:185], v[205:206], v[217:218]
	v_fma_f64 v[188:189], v[184:185], -0.5, v[190:191]
	v_add_f64 v[190:191], v[209:210], -v[205:206]
	v_add_f64 v[209:210], v[219:220], -v[215:216]
	v_fma_f64 v[184:185], v[186:187], s[12:13], v[188:189]
	v_fma_f64 v[186:187], v[186:187], s[18:19], v[188:189]
	v_add_f64 v[190:191], v[190:191], v[194:195]
	v_add_f64 v[188:189], v[211:212], v[215:216]
	v_add_f64 v[194:195], v[205:206], -v[217:218]
	v_add_f64 v[205:206], v[207:208], -v[211:212]
	v_fma_f64 v[184:185], v[182:183], s[16:17], v[184:185]
	v_fma_f64 v[182:183], v[182:183], s[6:7], v[186:187]
	v_add_f64 v[205:206], v[205:206], v[209:210]
	v_add_f64 v[209:210], v[215:216], -v[219:220]
	v_fma_f64 v[184:185], v[190:191], s[14:15], v[184:185]
	v_fma_f64 v[186:187], v[190:191], s[14:15], v[182:183]
	v_fma_f64 v[190:191], v[188:189], -0.5, v[192:193]
	v_add_f64 v[182:183], v[192:193], v[207:208]
	v_fma_f64 v[188:189], v[194:195], s[12:13], v[190:191]
	v_fma_f64 v[190:191], v[194:195], s[18:19], v[190:191]
	v_add_f64 v[182:183], v[182:183], v[211:212]
	v_fma_f64 v[188:189], v[197:198], s[6:7], v[188:189]
	v_fma_f64 v[190:191], v[197:198], s[16:17], v[190:191]
	v_add_f64 v[182:183], v[182:183], v[215:216]
	v_add_f64 v[215:216], v[172:173], -v[168:169]
	v_fma_f64 v[188:189], v[205:206], s[14:15], v[188:189]
	v_fma_f64 v[190:191], v[205:206], s[14:15], v[190:191]
	v_add_f64 v[205:206], v[207:208], v[219:220]
	v_add_f64 v[207:208], v[211:212], -v[207:208]
	v_add_f64 v[211:212], v[166:167], -v[170:171]
	v_add_f64 v[213:214], v[213:214], v[215:216]
	v_add_f64 v[182:183], v[182:183], v[219:220]
	v_fma_f64 v[205:206], v[205:206], -0.5, v[192:193]
	v_add_f64 v[207:208], v[207:208], v[209:210]
	v_fma_f64 v[192:193], v[197:198], s[18:19], v[205:206]
	v_fma_f64 v[197:198], v[197:198], s[12:13], v[205:206]
	v_add_f64 v[205:206], v[164:165], v[168:169]
	v_fma_f64 v[192:193], v[194:195], s[6:7], v[192:193]
	v_fma_f64 v[194:195], v[194:195], s[16:17], v[197:198]
	v_fma_f64 v[205:206], v[205:206], -0.5, v[160:161]
	v_add_f64 v[197:198], v[160:161], v[156:157]
	v_fma_f64 v[192:193], v[207:208], s[14:15], v[192:193]
	v_fma_f64 v[194:195], v[207:208], s[14:15], v[194:195]
	v_add_f64 v[207:208], v[158:159], -v[174:175]
	v_add_f64 v[197:198], v[197:198], v[164:165]
	v_fma_f64 v[209:210], v[207:208], s[18:19], v[205:206]
	v_fma_f64 v[205:206], v[207:208], s[12:13], v[205:206]
	v_add_f64 v[197:198], v[197:198], v[168:169]
	v_fma_f64 v[209:210], v[211:212], s[16:17], v[209:210]
	v_fma_f64 v[205:206], v[211:212], s[6:7], v[205:206]
	;; [unrolled: 3-line block ×3, first 2 shown]
	v_add_f64 v[205:206], v[156:157], v[172:173]
	v_add_f64 v[209:210], v[164:165], -v[156:157]
	v_add_f64 v[213:214], v[168:169], -v[172:173]
	;; [unrolled: 1-line block ×4, first 2 shown]
	v_fma_f64 v[160:161], v[205:206], -0.5, v[160:161]
	v_add_f64 v[209:210], v[209:210], v[213:214]
	v_fma_f64 v[205:206], v[211:212], s[12:13], v[160:161]
	v_fma_f64 v[160:161], v[211:212], s[18:19], v[160:161]
	;; [unrolled: 1-line block ×4, first 2 shown]
	v_mul_f64 v[207:208], v[215:216], s[6:7]
	v_fma_f64 v[221:222], v[209:210], s[14:15], v[205:206]
	v_fma_f64 v[223:224], v[209:210], s[14:15], v[160:161]
	v_add_f64 v[160:161], v[162:163], v[158:159]
	v_add_f64 v[205:206], v[174:175], -v[170:171]
	v_add_f64 v[160:161], v[160:161], v[166:167]
	v_add_f64 v[160:161], v[160:161], v[170:171]
	;; [unrolled: 1-line block ×4, first 2 shown]
	v_fma_f64 v[160:161], v[160:161], -0.5, v[162:163]
	v_fma_f64 v[172:173], v[156:157], s[12:13], v[160:161]
	v_fma_f64 v[160:161], v[156:157], s[18:19], v[160:161]
	v_fma_f64 v[168:169], v[164:165], s[6:7], v[172:173]
	v_add_f64 v[172:173], v[158:159], -v[166:167]
	v_fma_f64 v[160:161], v[164:165], s[16:17], v[160:161]
	v_add_f64 v[172:173], v[172:173], v[205:206]
	v_fma_f64 v[168:169], v[172:173], s[14:15], v[168:169]
	v_fma_f64 v[172:173], v[172:173], s[14:15], v[160:161]
	v_add_f64 v[160:161], v[158:159], v[174:175]
	v_add_f64 v[158:159], v[166:167], -v[158:159]
	v_add_f64 v[166:167], v[170:171], -v[174:175]
	v_fma_f64 v[227:228], v[168:169], s[20:21], v[207:208]
	v_fma_f64 v[160:161], v[160:161], -0.5, v[162:163]
	v_add_f64 v[158:159], v[158:159], v[166:167]
	v_add_f64 v[207:208], v[188:189], v[227:228]
	v_fma_f64 v[162:163], v[164:165], s[18:19], v[160:161]
	v_fma_f64 v[160:161], v[164:165], s[12:13], v[160:161]
	;; [unrolled: 1-line block ×4, first 2 shown]
	v_add_f64 v[160:161], v[176:177], v[197:198]
	v_add_f64 v[176:177], v[176:177], -v[197:198]
	v_fma_f64 v[166:167], v[158:159], s[14:15], v[162:163]
	v_fma_f64 v[156:157], v[158:159], s[14:15], v[156:157]
	v_mul_f64 v[158:159], v[168:169], s[16:17]
	v_mul_f64 v[162:163], v[166:167], s[18:19]
	v_mul_f64 v[166:167], v[166:167], s[14:15]
	v_fma_f64 v[158:159], v[215:216], s[20:21], v[158:159]
	v_fma_f64 v[164:165], v[221:222], s[14:15], v[162:163]
	v_mul_f64 v[162:163], v[156:157], s[18:19]
	s_mov_b32 s19, 0xbfd3c6ef
	s_mov_b32 s18, s14
	v_mul_f64 v[156:157], v[156:157], s[18:19]
	v_fma_f64 v[166:167], v[221:222], s[12:13], v[166:167]
	v_add_f64 v[205:206], v[180:181], v[158:159]
	v_add_f64 v[209:210], v[184:185], v[164:165]
	v_fma_f64 v[170:171], v[223:224], s[18:19], v[162:163]
	v_mul_f64 v[162:163], v[172:173], s[16:17]
	s_mov_b32 s17, 0xbfe9e377
	s_mov_b32 s16, s20
	v_fma_f64 v[221:222], v[223:224], s[12:13], v[156:157]
	v_mul_f64 v[156:157], v[172:173], s[16:17]
	v_add_f64 v[211:212], v[192:193], v[166:167]
	v_add_f64 v[164:165], v[184:185], -v[164:165]
	v_add_f64 v[213:214], v[186:187], v[170:171]
	v_fma_f64 v[174:175], v[219:220], s[16:17], v[162:163]
	v_add_f64 v[162:163], v[182:183], v[225:226]
	v_add_f64 v[166:167], v[192:193], -v[166:167]
	v_add_f64 v[215:216], v[194:195], v[221:222]
	v_fma_f64 v[223:224], v[219:220], s[6:7], v[156:157]
	v_add_f64 v[156:157], v[180:181], -v[158:159]
	v_add_f64 v[158:159], v[188:189], -v[227:228]
	;; [unrolled: 1-line block ×3, first 2 shown]
	v_add_f64 v[217:218], v[178:179], v[174:175]
	v_add_f64 v[168:169], v[178:179], -v[174:175]
	v_add_f64 v[178:179], v[182:183], -v[225:226]
	;; [unrolled: 1-line block ×3, first 2 shown]
	v_add_f64 v[219:220], v[190:191], v[223:224]
	v_add_f64 v[170:171], v[190:191], -v[223:224]
	ds_write_b128 v201, v[160:163]
	ds_write_b128 v201, v[205:208] offset:16
	ds_write_b128 v201, v[209:212] offset:32
	;; [unrolled: 1-line block ×9, first 2 shown]
	s_waitcnt lgkmcnt(0)
	s_barrier
	ds_read_b128 v[160:163], v199
	ds_read_b128 v[192:195], v199 offset:4800
	ds_read_b128 v[188:191], v199 offset:9600
	;; [unrolled: 1-line block ×5, first 2 shown]
	s_and_saveexec_b64 s[6:7], s[0:1]
	s_cbranch_execz .LBB0_11
; %bb.10:
	ds_read_b128 v[156:159], v199 offset:2880
	ds_read_b128 v[164:167], v199 offset:7680
	;; [unrolled: 1-line block ×6, first 2 shown]
.LBB0_11:
	s_or_b64 exec, exec, s[6:7]
	s_waitcnt lgkmcnt(4)
	v_mul_f64 v[197:198], v[78:79], v[194:195]
	v_mul_f64 v[78:79], v[78:79], v[192:193]
	s_waitcnt lgkmcnt(3)
	v_mul_f64 v[205:206], v[74:75], v[190:191]
	v_mul_f64 v[74:75], v[74:75], v[188:189]
	;; [unrolled: 3-line block ×3, first 2 shown]
	s_mov_b32 s6, 0xe8584caa
	s_mov_b32 s7, 0xbfebb67a
	v_fma_f64 v[192:193], v[76:77], v[192:193], v[197:198]
	v_fma_f64 v[76:77], v[76:77], v[194:195], -v[78:79]
	v_fma_f64 v[78:79], v[72:73], v[188:189], v[205:206]
	s_waitcnt lgkmcnt(1)
	v_mul_f64 v[188:189], v[66:67], v[182:183]
	v_mul_f64 v[66:67], v[66:67], v[180:181]
	v_fma_f64 v[72:73], v[72:73], v[190:191], -v[74:75]
	v_fma_f64 v[74:75], v[68:69], v[184:185], v[207:208]
	v_fma_f64 v[68:69], v[68:69], v[186:187], -v[70:71]
	s_waitcnt lgkmcnt(0)
	v_mul_f64 v[70:71], v[62:63], v[178:179]
	v_mul_f64 v[62:63], v[62:63], v[176:177]
	v_mul_f64 v[184:185], v[58:59], v[166:167]
	v_fma_f64 v[180:181], v[64:65], v[180:181], v[188:189]
	v_mul_f64 v[58:59], v[58:59], v[164:165]
	v_fma_f64 v[182:183], v[64:65], v[182:183], -v[66:67]
	v_mul_f64 v[64:65], v[54:55], v[174:175]
	v_mul_f64 v[66:67], v[54:55], v[172:173]
	v_fma_f64 v[70:71], v[60:61], v[176:177], v[70:71]
	v_fma_f64 v[176:177], v[60:61], v[178:179], -v[62:63]
	v_fma_f64 v[54:55], v[56:57], v[164:165], v[184:185]
	v_mul_f64 v[62:63], v[46:47], v[170:171]
	v_fma_f64 v[58:59], v[56:57], v[166:167], -v[58:59]
	v_mul_f64 v[46:47], v[46:47], v[168:169]
	v_fma_f64 v[56:57], v[52:53], v[172:173], v[64:65]
	v_mul_f64 v[64:65], v[42:43], v[154:155]
	v_mul_f64 v[42:43], v[42:43], v[152:153]
	v_fma_f64 v[60:61], v[52:53], v[174:175], -v[66:67]
	v_mul_f64 v[164:165], v[50:51], v[150:151]
	v_fma_f64 v[52:53], v[44:45], v[168:169], v[62:63]
	v_add_f64 v[166:167], v[78:79], v[180:181]
	v_fma_f64 v[66:67], v[44:45], v[170:171], -v[46:47]
	v_mul_f64 v[44:45], v[50:51], v[148:149]
	v_add_f64 v[46:47], v[160:161], v[78:79]
	v_fma_f64 v[50:51], v[40:41], v[152:153], v[64:65]
	v_fma_f64 v[64:65], v[40:41], v[154:155], -v[42:43]
	v_add_f64 v[40:41], v[68:69], v[176:177]
	v_fma_f64 v[62:63], v[48:49], v[148:149], v[164:165]
	v_fma_f64 v[42:43], v[166:167], -0.5, v[160:161]
	v_add_f64 v[148:149], v[72:73], -v[182:183]
	v_fma_f64 v[48:49], v[48:49], v[150:151], -v[44:45]
	v_add_f64 v[44:45], v[46:47], v[180:181]
	v_add_f64 v[46:47], v[74:75], v[70:71]
	v_add_f64 v[150:151], v[74:75], -v[70:71]
	v_fma_f64 v[40:41], v[40:41], -0.5, v[76:77]
	s_mov_b32 s13, 0x3febb67a
	s_mov_b32 s12, s6
	v_fma_f64 v[170:171], v[148:149], s[6:7], v[42:43]
	v_add_f64 v[152:153], v[72:73], v[182:183]
	v_add_f64 v[154:155], v[68:69], -v[176:177]
	v_fma_f64 v[46:47], v[46:47], -0.5, v[192:193]
	v_fma_f64 v[42:43], v[148:149], s[12:13], v[42:43]
	v_fma_f64 v[148:149], v[150:151], s[12:13], v[40:41]
	;; [unrolled: 1-line block ×3, first 2 shown]
	v_add_f64 v[72:73], v[162:163], v[72:73]
	v_add_f64 v[68:69], v[76:77], v[68:69]
	v_fma_f64 v[150:151], v[152:153], -0.5, v[162:163]
	v_add_f64 v[74:75], v[192:193], v[74:75]
	v_fma_f64 v[152:153], v[154:155], s[6:7], v[46:47]
	v_fma_f64 v[46:47], v[154:155], s[12:13], v[46:47]
	v_mul_f64 v[154:155], v[148:149], s[6:7]
	v_mul_f64 v[160:161], v[40:41], s[6:7]
	v_add_f64 v[174:175], v[72:73], v[182:183]
	v_mul_f64 v[72:73], v[148:149], 0.5
	v_mul_f64 v[40:41], v[40:41], -0.5
	v_add_f64 v[182:183], v[68:69], v[176:177]
	v_add_f64 v[68:69], v[66:67], v[48:49]
	v_add_f64 v[78:79], v[78:79], -v[180:181]
	v_add_f64 v[70:71], v[74:75], v[70:71]
	v_fma_f64 v[74:75], v[152:153], 0.5, v[154:155]
	v_fma_f64 v[180:181], v[46:47], -0.5, v[160:161]
	v_fma_f64 v[186:187], v[152:153], s[12:13], v[72:73]
	v_fma_f64 v[40:41], v[46:47], s[12:13], v[40:41]
	v_add_f64 v[46:47], v[52:53], v[62:63]
	v_fma_f64 v[68:69], v[68:69], -0.5, v[58:59]
	v_add_f64 v[72:73], v[52:53], -v[62:63]
	v_add_f64 v[152:153], v[44:45], v[70:71]
	v_add_f64 v[160:161], v[170:171], v[74:75]
	;; [unrolled: 1-line block ×3, first 2 shown]
	v_add_f64 v[168:169], v[44:45], -v[70:71]
	v_add_f64 v[44:45], v[60:61], v[64:65]
	v_fma_f64 v[46:47], v[46:47], -0.5, v[54:55]
	v_add_f64 v[70:71], v[66:67], -v[48:49]
	v_add_f64 v[172:173], v[170:171], -v[74:75]
	v_fma_f64 v[74:75], v[72:73], s[12:13], v[68:69]
	v_fma_f64 v[68:69], v[72:73], s[6:7], v[68:69]
	v_fma_f64 v[178:179], v[78:79], s[12:13], v[150:151]
	v_fma_f64 v[184:185], v[78:79], s[6:7], v[150:151]
	v_fma_f64 v[72:73], v[76:77], -0.5, v[156:157]
	v_add_f64 v[76:77], v[60:61], -v[64:65]
	v_fma_f64 v[44:45], v[44:45], -0.5, v[158:159]
	v_add_f64 v[78:79], v[56:57], -v[50:51]
	v_fma_f64 v[148:149], v[70:71], s[6:7], v[46:47]
	v_fma_f64 v[46:47], v[70:71], s[12:13], v[46:47]
	v_mul_f64 v[150:151], v[74:75], s[6:7]
	v_mul_f64 v[170:171], v[68:69], s[6:7]
	v_mul_f64 v[176:177], v[74:75], 0.5
	v_mul_f64 v[188:189], v[68:69], -0.5
	v_fma_f64 v[68:69], v[76:77], s[6:7], v[72:73]
	v_fma_f64 v[70:71], v[76:77], s[12:13], v[72:73]
	;; [unrolled: 1-line block ×4, first 2 shown]
	v_fma_f64 v[72:73], v[148:149], 0.5, v[150:151]
	v_fma_f64 v[74:75], v[46:47], -0.5, v[170:171]
	v_fma_f64 v[148:149], v[148:149], s[12:13], v[176:177]
	v_fma_f64 v[150:151], v[46:47], s[12:13], v[188:189]
	v_add_f64 v[164:165], v[42:43], v[180:181]
	v_add_f64 v[154:155], v[174:175], v[182:183]
	;; [unrolled: 1-line block ×4, first 2 shown]
	v_add_f64 v[176:177], v[42:43], -v[180:181]
	v_add_f64 v[170:171], v[174:175], -v[182:183]
	;; [unrolled: 1-line block ×8, first 2 shown]
	s_barrier
	ds_write_b128 v203, v[152:155]
	ds_write_b128 v203, v[160:163] offset:160
	ds_write_b128 v203, v[164:167] offset:320
	;; [unrolled: 1-line block ×5, first 2 shown]
	s_and_saveexec_b64 s[6:7], s[0:1]
	s_cbranch_execz .LBB0_13
; %bb.12:
	v_add_f64 v[60:61], v[158:159], v[60:61]
	v_add_f64 v[58:59], v[58:59], v[66:67]
	;; [unrolled: 1-line block ×12, first 2 shown]
	v_add_f64 v[58:59], v[60:61], -v[64:65]
	v_add_f64 v[62:63], v[60:61], v[64:65]
	v_add_f64 v[60:61], v[56:57], v[66:67]
	v_add_f64 v[56:57], v[56:57], -v[66:67]
	v_lshlrev_b32_e32 v64, 4, v202
	ds_write_b128 v64, v[40:43] offset:640
	ds_write_b128 v64, v[52:55] offset:160
	;; [unrolled: 1-line block ×3, first 2 shown]
	ds_write_b128 v64, v[60:63]
	ds_write_b128 v64, v[56:59] offset:480
	ds_write_b128 v64, v[44:47] offset:800
.LBB0_13:
	s_or_b64 exec, exec, s[6:7]
	s_waitcnt lgkmcnt(0)
	s_barrier
	ds_read_b128 v[48:51], v199
	ds_read_b128 v[52:55], v199 offset:2880
	ds_read_b128 v[56:59], v199 offset:5760
	ds_read_b128 v[60:63], v199 offset:8640
	ds_read_b128 v[64:67], v199 offset:11520
	ds_read_b128 v[68:71], v199 offset:14400
	s_waitcnt lgkmcnt(4)
	v_mul_f64 v[156:157], v[98:99], v[54:55]
	v_mul_f64 v[98:99], v[98:99], v[52:53]
	s_waitcnt lgkmcnt(3)
	v_mul_f64 v[158:159], v[90:91], v[58:59]
	v_mul_f64 v[90:91], v[90:91], v[56:57]
	ds_read_b128 v[72:75], v199 offset:17280
	ds_read_b128 v[76:79], v199 offset:20160
	;; [unrolled: 1-line block ×4, first 2 shown]
	s_mov_b32 s6, 0x134454ff
	s_mov_b32 s7, 0xbfee6f0e
	v_fma_f64 v[52:53], v[96:97], v[52:53], v[156:157]
	v_fma_f64 v[54:55], v[96:97], v[54:55], -v[98:99]
	s_waitcnt lgkmcnt(6)
	v_mul_f64 v[96:97], v[86:87], v[62:63]
	v_mul_f64 v[86:87], v[86:87], v[60:61]
	v_fma_f64 v[56:57], v[88:89], v[56:57], v[158:159]
	s_waitcnt lgkmcnt(5)
	v_mul_f64 v[98:99], v[82:83], v[66:67]
	v_fma_f64 v[58:59], v[88:89], v[58:59], -v[90:91]
	v_mul_f64 v[82:83], v[82:83], v[64:65]
	s_waitcnt lgkmcnt(3)
	v_mul_f64 v[90:91], v[102:103], v[74:75]
	v_mul_f64 v[88:89], v[110:111], v[70:71]
	v_fma_f64 v[60:61], v[84:85], v[60:61], v[96:97]
	v_fma_f64 v[62:63], v[84:85], v[62:63], -v[86:87]
	v_mul_f64 v[84:85], v[110:111], v[68:69]
	v_fma_f64 v[64:65], v[80:81], v[64:65], v[98:99]
	v_add_f64 v[86:87], v[48:49], v[56:57]
	v_fma_f64 v[66:67], v[80:81], v[66:67], -v[82:83]
	v_fma_f64 v[80:81], v[100:101], v[72:73], v[90:91]
	s_waitcnt lgkmcnt(1)
	v_mul_f64 v[82:83], v[106:107], v[148:149]
	v_fma_f64 v[68:69], v[108:109], v[68:69], v[88:89]
	v_mul_f64 v[88:89], v[106:107], v[150:151]
	v_fma_f64 v[70:71], v[108:109], v[70:71], -v[84:85]
	v_mul_f64 v[72:73], v[102:103], v[72:73]
	v_add_f64 v[84:85], v[86:87], v[64:65]
	v_mul_f64 v[86:87], v[94:95], v[78:79]
	v_mul_f64 v[90:91], v[94:95], v[76:77]
	v_add_f64 v[94:95], v[64:65], v[80:81]
	v_fma_f64 v[82:83], v[104:105], v[150:151], -v[82:83]
	v_fma_f64 v[88:89], v[104:105], v[148:149], v[88:89]
	s_waitcnt lgkmcnt(0)
	v_mul_f64 v[96:97], v[122:123], v[154:155]
	v_mul_f64 v[98:99], v[122:123], v[152:153]
	v_fma_f64 v[72:73], v[100:101], v[74:75], -v[72:73]
	v_fma_f64 v[74:75], v[92:93], v[76:77], v[86:87]
	v_fma_f64 v[78:79], v[92:93], v[78:79], -v[90:91]
	v_fma_f64 v[76:77], v[94:95], -0.5, v[48:49]
	v_add_f64 v[86:87], v[58:59], -v[82:83]
	v_add_f64 v[94:95], v[56:57], v[88:89]
	v_fma_f64 v[90:91], v[120:121], v[152:153], v[96:97]
	v_fma_f64 v[92:93], v[120:121], v[154:155], -v[98:99]
	v_add_f64 v[98:99], v[66:67], -v[72:73]
	v_add_f64 v[100:101], v[56:57], -v[64:65]
	;; [unrolled: 1-line block ×3, first 2 shown]
	s_mov_b32 s16, 0x4755a5e
	v_fma_f64 v[96:97], v[86:87], s[6:7], v[76:77]
	s_mov_b32 s1, 0x3fee6f0e
	s_mov_b32 s0, s6
	;; [unrolled: 1-line block ×3, first 2 shown]
	v_fma_f64 v[76:77], v[86:87], s[0:1], v[76:77]
	v_fma_f64 v[48:49], v[94:95], -0.5, v[48:49]
	s_mov_b32 s13, 0x3fe2cf23
	s_mov_b32 s12, s16
	v_fma_f64 v[94:95], v[98:99], s[16:17], v[96:97]
	v_add_f64 v[96:97], v[100:101], v[102:103]
	v_add_f64 v[100:101], v[66:67], v[72:73]
	;; [unrolled: 1-line block ×3, first 2 shown]
	v_fma_f64 v[76:77], v[98:99], s[12:13], v[76:77]
	v_fma_f64 v[102:103], v[98:99], s[0:1], v[48:49]
	v_add_f64 v[104:105], v[64:65], -v[56:57]
	v_add_f64 v[106:107], v[80:81], -v[88:89]
	v_add_f64 v[108:109], v[50:51], v[58:59]
	v_add_f64 v[56:57], v[56:57], -v[88:89]
	v_fma_f64 v[100:101], v[100:101], -0.5, v[50:51]
	v_fma_f64 v[48:49], v[98:99], s[6:7], v[48:49]
	v_add_f64 v[84:85], v[84:85], v[88:89]
	v_fma_f64 v[88:89], v[96:97], s[14:15], v[94:95]
	v_fma_f64 v[94:95], v[96:97], s[14:15], v[76:77]
	;; [unrolled: 1-line block ×3, first 2 shown]
	v_add_f64 v[96:97], v[104:105], v[106:107]
	v_add_f64 v[98:99], v[108:109], v[66:67]
	v_fma_f64 v[102:103], v[56:57], s[0:1], v[100:101]
	v_add_f64 v[64:65], v[64:65], -v[80:81]
	v_add_f64 v[80:81], v[58:59], -v[66:67]
	;; [unrolled: 1-line block ×3, first 2 shown]
	v_fma_f64 v[100:101], v[56:57], s[6:7], v[100:101]
	v_add_f64 v[106:107], v[58:59], v[82:83]
	v_fma_f64 v[48:49], v[86:87], s[12:13], v[48:49]
	v_add_f64 v[86:87], v[98:99], v[72:73]
	;; [unrolled: 2-line block ×4, first 2 shown]
	v_fma_f64 v[100:101], v[64:65], s[16:17], v[100:101]
	v_fma_f64 v[50:51], v[106:107], -0.5, v[50:51]
	v_fma_f64 v[48:49], v[96:97], s[14:15], v[48:49]
	v_add_f64 v[96:97], v[52:53], v[60:61]
	v_add_f64 v[104:105], v[62:63], -v[92:93]
	v_fma_f64 v[76:77], v[76:77], -0.5, v[52:53]
	v_add_f64 v[58:59], v[66:67], -v[58:59]
	v_fma_f64 v[102:103], v[80:81], s[14:15], v[102:103]
	v_fma_f64 v[100:101], v[80:81], s[14:15], v[100:101]
	v_fma_f64 v[80:81], v[64:65], s[6:7], v[50:51]
	v_add_f64 v[66:67], v[72:73], -v[82:83]
	v_fma_f64 v[50:51], v[64:65], s[0:1], v[50:51]
	v_add_f64 v[64:65], v[96:97], v[68:69]
	v_add_f64 v[86:87], v[86:87], v[82:83]
	v_fma_f64 v[72:73], v[104:105], s[6:7], v[76:77]
	v_add_f64 v[82:83], v[70:71], -v[78:79]
	v_add_f64 v[96:97], v[60:61], -v[68:69]
	;; [unrolled: 1-line block ×3, first 2 shown]
	v_fma_f64 v[80:81], v[56:57], s[12:13], v[80:81]
	v_add_f64 v[110:111], v[70:71], v[78:79]
	v_add_f64 v[58:59], v[58:59], v[66:67]
	v_fma_f64 v[50:51], v[56:57], s[16:17], v[50:51]
	v_add_f64 v[56:57], v[64:65], v[74:75]
	v_add_f64 v[108:109], v[60:61], v[90:91]
	v_fma_f64 v[64:65], v[82:83], s[16:17], v[72:73]
	v_add_f64 v[66:67], v[96:97], v[106:107]
	v_fma_f64 v[72:73], v[104:105], s[0:1], v[76:77]
	v_fma_f64 v[76:77], v[110:111], -0.5, v[54:55]
	v_add_f64 v[96:97], v[60:61], -v[90:91]
	v_fma_f64 v[106:107], v[58:59], s[14:15], v[80:81]
	v_add_f64 v[80:81], v[56:57], v[90:91]
	v_add_f64 v[56:57], v[62:63], v[92:93]
	v_fma_f64 v[52:53], v[108:109], -0.5, v[52:53]
	v_add_f64 v[110:111], v[68:69], -v[74:75]
	v_add_f64 v[120:121], v[62:63], -v[70:71]
	;; [unrolled: 1-line block ×3, first 2 shown]
	v_fma_f64 v[108:109], v[96:97], s[0:1], v[76:77]
	v_fma_f64 v[50:51], v[58:59], s[14:15], v[50:51]
	v_fma_f64 v[72:73], v[82:83], s[12:13], v[72:73]
	v_fma_f64 v[56:57], v[56:57], -0.5, v[54:55]
	v_add_f64 v[54:55], v[54:55], v[62:63]
	v_fma_f64 v[58:59], v[82:83], s[0:1], v[52:53]
	v_add_f64 v[60:61], v[68:69], -v[60:61]
	v_add_f64 v[68:69], v[74:75], -v[90:91]
	v_fma_f64 v[52:53], v[82:83], s[6:7], v[52:53]
	v_fma_f64 v[74:75], v[110:111], s[12:13], v[108:109]
	v_add_f64 v[82:83], v[120:121], v[122:123]
	v_fma_f64 v[90:91], v[110:111], s[6:7], v[56:57]
	v_add_f64 v[62:63], v[70:71], -v[62:63]
	v_add_f64 v[108:109], v[78:79], -v[92:93]
	v_fma_f64 v[56:57], v[110:111], s[0:1], v[56:57]
	v_add_f64 v[54:55], v[54:55], v[70:71]
	v_fma_f64 v[70:71], v[96:97], s[6:7], v[76:77]
	v_add_f64 v[60:61], v[60:61], v[68:69]
	v_fma_f64 v[68:69], v[82:83], s[14:15], v[74:75]
	v_fma_f64 v[74:75], v[96:97], s[12:13], v[90:91]
	;; [unrolled: 1-line block ×3, first 2 shown]
	v_add_f64 v[62:63], v[62:63], v[108:109]
	v_fma_f64 v[56:57], v[96:97], s[16:17], v[56:57]
	v_add_f64 v[54:55], v[54:55], v[78:79]
	v_fma_f64 v[70:71], v[110:111], s[16:17], v[70:71]
	v_fma_f64 v[64:65], v[66:67], s[14:15], v[64:65]
	;; [unrolled: 1-line block ×4, first 2 shown]
	v_mul_f64 v[72:73], v[68:69], s[16:17]
	v_fma_f64 v[74:75], v[62:63], s[14:15], v[74:75]
	v_fma_f64 v[56:57], v[62:63], s[14:15], v[56:57]
	v_add_f64 v[78:79], v[54:55], v[92:93]
	v_fma_f64 v[54:55], v[82:83], s[14:15], v[70:71]
	s_mov_b32 s18, 0x9b97f4a8
	s_mov_b32 s19, 0x3fe9e377
	v_mul_f64 v[68:69], v[68:69], s[18:19]
	v_fma_f64 v[58:59], v[60:61], s[14:15], v[58:59]
	v_mul_f64 v[62:63], v[74:75], s[6:7]
	v_mul_f64 v[70:71], v[56:57], s[6:7]
	s_mov_b32 s7, 0xbfd3c6ef
	s_mov_b32 s6, s14
	v_mul_f64 v[74:75], v[74:75], s[14:15]
	v_fma_f64 v[60:61], v[60:61], s[14:15], v[52:53]
	v_fma_f64 v[76:77], v[64:65], s[18:19], v[72:73]
	v_mul_f64 v[72:73], v[54:55], s[16:17]
	s_mov_b32 s17, 0xbfe9e377
	s_mov_b32 s16, s18
	v_mul_f64 v[82:83], v[56:57], s[6:7]
	v_mul_f64 v[54:55], v[54:55], s[16:17]
	v_fma_f64 v[104:105], v[64:65], s[12:13], v[68:69]
	v_fma_f64 v[90:91], v[58:59], s[14:15], v[62:63]
	;; [unrolled: 1-line block ×5, first 2 shown]
	v_add_f64 v[52:53], v[84:85], v[80:81]
	v_fma_f64 v[110:111], v[60:61], s[0:1], v[82:83]
	v_fma_f64 v[120:121], v[66:67], s[12:13], v[54:55]
	v_add_f64 v[54:55], v[86:87], v[78:79]
	v_add_f64 v[56:57], v[88:89], v[76:77]
	;; [unrolled: 1-line block ×9, first 2 shown]
	v_add_f64 v[72:73], v[84:85], -v[80:81]
	v_add_f64 v[74:75], v[86:87], -v[78:79]
	;; [unrolled: 1-line block ×10, first 2 shown]
	s_barrier
	ds_write_b128 v204, v[52:55]
	ds_write_b128 v204, v[56:59] offset:960
	ds_write_b128 v204, v[60:63] offset:1920
	;; [unrolled: 1-line block ×9, first 2 shown]
	s_waitcnt lgkmcnt(0)
	s_barrier
	ds_read_b128 v[60:63], v199
	ds_read_b128 v[56:59], v199 offset:2880
	ds_read_b128 v[80:83], v199 offset:19200
	;; [unrolled: 1-line block ×8, first 2 shown]
	s_and_saveexec_b64 s[0:1], s[2:3]
	s_cbranch_execz .LBB0_15
; %bb.14:
	ds_read_b128 v[48:51], v199 offset:8640
	ds_read_b128 v[40:43], v199 offset:18240
	;; [unrolled: 1-line block ×3, first 2 shown]
.LBB0_15:
	s_or_b64 exec, exec, s[0:1]
	s_waitcnt lgkmcnt(4)
	v_mul_f64 v[88:89], v[126:127], v[86:87]
	v_mul_f64 v[90:91], v[130:131], v[82:83]
	v_mul_f64 v[92:93], v[126:127], v[84:85]
	v_mul_f64 v[94:95], v[130:131], v[80:81]
	s_waitcnt lgkmcnt(2)
	v_mul_f64 v[96:97], v[134:135], v[78:79]
	v_mul_f64 v[100:101], v[138:139], v[70:71]
	;; [unrolled: 1-line block ×3, first 2 shown]
	s_waitcnt lgkmcnt(0)
	v_mul_f64 v[106:107], v[142:143], v[64:65]
	v_fma_f64 v[84:85], v[124:125], v[84:85], v[88:89]
	v_fma_f64 v[80:81], v[128:129], v[80:81], v[90:91]
	v_fma_f64 v[86:87], v[124:125], v[86:87], -v[92:93]
	v_fma_f64 v[82:83], v[128:129], v[82:83], -v[94:95]
	v_mul_f64 v[88:89], v[138:139], v[68:69]
	v_mul_f64 v[90:91], v[146:147], v[74:75]
	v_fma_f64 v[94:95], v[132:133], v[76:77], v[96:97]
	v_fma_f64 v[96:97], v[136:137], v[68:69], v[100:101]
	v_mul_f64 v[102:103], v[146:147], v[72:73]
	v_mul_f64 v[104:105], v[142:143], v[66:67]
	v_add_f64 v[92:93], v[84:85], v[80:81]
	v_add_f64 v[68:69], v[60:61], v[84:85]
	;; [unrolled: 1-line block ×3, first 2 shown]
	v_fma_f64 v[78:79], v[132:133], v[78:79], -v[98:99]
	v_fma_f64 v[88:89], v[136:137], v[70:71], -v[88:89]
	v_fma_f64 v[90:91], v[144:145], v[72:73], v[90:91]
	v_add_f64 v[72:73], v[86:87], -v[82:83]
	v_add_f64 v[86:87], v[62:63], v[86:87]
	v_fma_f64 v[98:99], v[140:141], v[66:67], -v[106:107]
	v_add_f64 v[66:67], v[94:95], v[96:97]
	v_fma_f64 v[74:75], v[144:145], v[74:75], -v[102:103]
	v_fma_f64 v[70:71], v[92:93], -0.5, v[60:61]
	v_fma_f64 v[92:93], v[140:141], v[64:65], v[104:105]
	v_add_f64 v[60:61], v[68:69], v[80:81]
	v_fma_f64 v[76:77], v[76:77], -0.5, v[62:63]
	v_add_f64 v[80:81], v[84:85], -v[80:81]
	v_add_f64 v[84:85], v[56:57], v[94:95]
	v_add_f64 v[62:63], v[86:87], v[82:83]
	;; [unrolled: 1-line block ×3, first 2 shown]
	s_mov_b32 s0, 0xe8584caa
	s_mov_b32 s1, 0xbfebb67a
	;; [unrolled: 1-line block ×4, first 2 shown]
	v_fma_f64 v[100:101], v[66:67], -0.5, v[56:57]
	v_add_f64 v[102:103], v[78:79], -v[88:89]
	v_fma_f64 v[64:65], v[72:73], s[0:1], v[70:71]
	v_fma_f64 v[68:69], v[72:73], s[6:7], v[70:71]
	;; [unrolled: 1-line block ×4, first 2 shown]
	v_add_f64 v[56:57], v[84:85], v[96:97]
	v_add_f64 v[80:81], v[90:91], v[92:93]
	;; [unrolled: 1-line block ×4, first 2 shown]
	v_fma_f64 v[82:83], v[82:83], -0.5, v[58:59]
	v_add_f64 v[86:87], v[94:95], -v[96:97]
	v_fma_f64 v[72:73], v[102:103], s[0:1], v[100:101]
	v_fma_f64 v[76:77], v[102:103], s[6:7], v[100:101]
	v_add_f64 v[94:95], v[52:53], v[90:91]
	v_add_f64 v[102:103], v[54:55], v[74:75]
	v_fma_f64 v[96:97], v[80:81], -0.5, v[52:53]
	v_add_f64 v[100:101], v[74:75], -v[98:99]
	v_fma_f64 v[104:105], v[84:85], -0.5, v[54:55]
	v_add_f64 v[90:91], v[90:91], -v[92:93]
	v_add_f64 v[58:59], v[78:79], v[88:89]
	v_fma_f64 v[74:75], v[86:87], s[6:7], v[82:83]
	v_fma_f64 v[78:79], v[86:87], s[0:1], v[82:83]
	v_add_f64 v[52:53], v[94:95], v[92:93]
	v_add_f64 v[54:55], v[102:103], v[98:99]
	v_fma_f64 v[80:81], v[100:101], s[0:1], v[96:97]
	v_fma_f64 v[84:85], v[100:101], s[6:7], v[96:97]
	;; [unrolled: 1-line block ×4, first 2 shown]
	ds_write_b128 v199, v[60:63]
	ds_write_b128 v199, v[64:67] offset:9600
	ds_write_b128 v199, v[68:71] offset:19200
	;; [unrolled: 1-line block ×8, first 2 shown]
	s_and_saveexec_b64 s[12:13], s[2:3]
	s_cbranch_execz .LBB0_17
; %bb.16:
	v_mul_f64 v[52:53], v[114:115], v[40:41]
	v_mul_f64 v[54:55], v[118:119], v[44:45]
	;; [unrolled: 1-line block ×4, first 2 shown]
	v_fma_f64 v[42:43], v[112:113], v[42:43], -v[52:53]
	v_fma_f64 v[46:47], v[116:117], v[46:47], -v[54:55]
	v_fma_f64 v[40:41], v[112:113], v[40:41], v[56:57]
	v_fma_f64 v[44:45], v[116:117], v[44:45], v[58:59]
	v_add_f64 v[58:59], v[50:51], v[42:43]
	v_add_f64 v[52:53], v[42:43], v[46:47]
	v_add_f64 v[54:55], v[40:41], v[44:45]
	v_add_f64 v[56:57], v[40:41], -v[44:45]
	v_add_f64 v[40:41], v[48:49], v[40:41]
	v_fma_f64 v[50:51], v[52:53], -0.5, v[50:51]
	v_add_f64 v[52:53], v[42:43], -v[46:47]
	v_fma_f64 v[54:55], v[54:55], -0.5, v[48:49]
	v_add_f64 v[42:43], v[58:59], v[46:47]
	v_add_f64 v[40:41], v[40:41], v[44:45]
	v_fma_f64 v[46:47], v[56:57], s[0:1], v[50:51]
	v_fma_f64 v[50:51], v[56:57], s[6:7], v[50:51]
	;; [unrolled: 1-line block ×4, first 2 shown]
	ds_write_b128 v199, v[40:43] offset:8640
	ds_write_b128 v199, v[48:51] offset:18240
	;; [unrolled: 1-line block ×3, first 2 shown]
.LBB0_17:
	s_or_b64 exec, exec, s[12:13]
	s_waitcnt lgkmcnt(0)
	s_barrier
	ds_read_b128 v[40:43], v199
	ds_read_b128 v[44:47], v199 offset:2880
	v_mad_u64_u32 v[48:49], s[0:1], s10, v196, 0
	s_mul_i32 s2, s9, 0xb40
	s_waitcnt lgkmcnt(1)
	v_mul_f64 v[50:51], v[34:35], v[42:43]
	v_mul_f64 v[34:35], v[34:35], v[40:41]
	s_mul_hi_u32 s3, s8, 0xb40
	s_add_i32 s2, s3, s2
	s_mul_i32 s3, s8, 0xb40
	v_mad_u64_u32 v[52:53], s[0:1], s11, v196, v[49:50]
	v_mad_u64_u32 v[53:54], s[0:1], s8, v200, 0
	v_fma_f64 v[40:41], v[32:33], v[40:41], v[50:51]
	v_fma_f64 v[34:35], v[32:33], v[42:43], -v[34:35]
	v_mov_b32_e32 v32, v54
	v_mad_u64_u32 v[42:43], s[0:1], s9, v200, v[32:33]
	s_mov_b32 s0, 0x789abcdf
	s_mov_b32 s1, 0x3f423456
	v_mov_b32_e32 v54, v42
	s_waitcnt lgkmcnt(0)
	v_mul_f64 v[42:43], v[18:19], v[46:47]
	v_mul_f64 v[18:19], v[18:19], v[44:45]
	v_mov_b32_e32 v49, v52
	v_mul_f64 v[32:33], v[40:41], s[0:1]
	v_mul_f64 v[34:35], v[34:35], s[0:1]
	v_lshlrev_b64 v[40:41], 4, v[48:49]
	v_mov_b32_e32 v48, s5
	v_add_co_u32_e32 v49, vcc, s4, v40
	v_fma_f64 v[42:43], v[16:17], v[44:45], v[42:43]
	v_fma_f64 v[44:45], v[16:17], v[46:47], -v[18:19]
	ds_read_b128 v[16:19], v199 offset:5760
	v_addc_co_u32_e32 v48, vcc, v48, v41, vcc
	v_lshlrev_b64 v[40:41], 4, v[53:54]
	v_mov_b32_e32 v50, s2
	v_add_co_u32_e32 v46, vcc, v49, v40
	v_addc_co_u32_e32 v47, vcc, v48, v41, vcc
	global_store_dwordx4 v[46:47], v[32:35], off
	v_add_co_u32_e32 v46, vcc, s3, v46
	v_mul_f64 v[32:33], v[42:43], s[0:1]
	ds_read_b128 v[40:43], v199 offset:8640
	s_waitcnt lgkmcnt(1)
	v_mul_f64 v[48:49], v[6:7], v[18:19]
	v_mul_f64 v[6:7], v[6:7], v[16:17]
	;; [unrolled: 1-line block ×3, first 2 shown]
	v_addc_co_u32_e32 v47, vcc, v47, v50, vcc
	s_waitcnt lgkmcnt(0)
	v_mul_f64 v[44:45], v[30:31], v[42:43]
	v_mul_f64 v[30:31], v[30:31], v[40:41]
	v_fma_f64 v[16:17], v[4:5], v[16:17], v[48:49]
	v_fma_f64 v[6:7], v[4:5], v[18:19], -v[6:7]
	global_store_dwordx4 v[46:47], v[32:35], off
	v_mov_b32_e32 v48, s2
	v_fma_f64 v[32:33], v[28:29], v[40:41], v[44:45]
	v_fma_f64 v[34:35], v[28:29], v[42:43], -v[30:31]
	ds_read_b128 v[28:31], v199 offset:14400
	v_mul_f64 v[4:5], v[16:17], s[0:1]
	ds_read_b128 v[16:19], v199 offset:11520
	v_mul_f64 v[6:7], v[6:7], s[0:1]
	v_add_co_u32_e32 v42, vcc, s3, v46
	v_addc_co_u32_e32 v43, vcc, v47, v48, vcc
	s_waitcnt lgkmcnt(0)
	v_mul_f64 v[40:41], v[10:11], v[18:19]
	v_mul_f64 v[10:11], v[10:11], v[16:17]
	global_store_dwordx4 v[42:43], v[4:7], off
	s_nop 0
	v_mul_f64 v[4:5], v[32:33], s[0:1]
	v_mul_f64 v[6:7], v[34:35], s[0:1]
	v_mov_b32_e32 v33, s2
	v_add_co_u32_e32 v32, vcc, s3, v42
	v_fma_f64 v[16:17], v[8:9], v[16:17], v[40:41]
	v_fma_f64 v[8:9], v[8:9], v[18:19], -v[10:11]
	v_mul_f64 v[18:19], v[14:15], v[30:31]
	v_mul_f64 v[14:15], v[14:15], v[28:29]
	v_addc_co_u32_e32 v33, vcc, v43, v33, vcc
	global_store_dwordx4 v[32:33], v[4:7], off
	v_mov_b32_e32 v34, s2
	v_mul_f64 v[4:5], v[16:17], s[0:1]
	v_mul_f64 v[6:7], v[8:9], s[0:1]
	ds_read_b128 v[8:11], v199 offset:17280
	v_fma_f64 v[16:17], v[12:13], v[28:29], v[18:19]
	v_fma_f64 v[18:19], v[12:13], v[30:31], -v[14:15]
	ds_read_b128 v[12:15], v199 offset:20160
	v_add_co_u32_e32 v32, vcc, s3, v32
	s_waitcnt lgkmcnt(1)
	v_mul_f64 v[28:29], v[38:39], v[10:11]
	v_mul_f64 v[30:31], v[38:39], v[8:9]
	v_addc_co_u32_e32 v33, vcc, v33, v34, vcc
	global_store_dwordx4 v[32:33], v[4:7], off
	v_fma_f64 v[8:9], v[36:37], v[8:9], v[28:29]
	v_mul_f64 v[4:5], v[16:17], s[0:1]
	v_mul_f64 v[6:7], v[18:19], s[0:1]
	v_fma_f64 v[10:11], v[36:37], v[10:11], -v[30:31]
	s_waitcnt lgkmcnt(0)
	v_mul_f64 v[16:17], v[22:23], v[14:15]
	v_mul_f64 v[18:19], v[22:23], v[12:13]
	v_add_co_u32_e32 v22, vcc, s3, v32
	v_addc_co_u32_e32 v23, vcc, v33, v34, vcc
	global_store_dwordx4 v[22:23], v[4:7], off
	v_mov_b32_e32 v28, s2
	v_mul_f64 v[4:5], v[8:9], s[0:1]
	v_mul_f64 v[6:7], v[10:11], s[0:1]
	v_fma_f64 v[16:17], v[20:21], v[12:13], v[16:17]
	v_fma_f64 v[18:19], v[20:21], v[14:15], -v[18:19]
	ds_read_b128 v[8:11], v199 offset:23040
	ds_read_b128 v[12:15], v199 offset:25920
	v_add_co_u32_e32 v20, vcc, s3, v22
	v_addc_co_u32_e32 v21, vcc, v23, v28, vcc
	s_waitcnt lgkmcnt(1)
	v_mul_f64 v[22:23], v[2:3], v[10:11]
	v_mul_f64 v[28:29], v[2:3], v[8:9]
	s_waitcnt lgkmcnt(0)
	v_mul_f64 v[30:31], v[26:27], v[14:15]
	v_mul_f64 v[26:27], v[26:27], v[12:13]
	global_store_dwordx4 v[20:21], v[4:7], off
	v_mul_f64 v[2:3], v[16:17], s[0:1]
	v_mul_f64 v[4:5], v[18:19], s[0:1]
	v_mov_b32_e32 v16, s2
	v_fma_f64 v[6:7], v[0:1], v[8:9], v[22:23]
	v_fma_f64 v[8:9], v[0:1], v[10:11], -v[28:29]
	v_fma_f64 v[10:11], v[24:25], v[12:13], v[30:31]
	v_fma_f64 v[12:13], v[24:25], v[14:15], -v[26:27]
	v_add_co_u32_e32 v14, vcc, s3, v20
	v_addc_co_u32_e32 v15, vcc, v21, v16, vcc
	global_store_dwordx4 v[14:15], v[2:5], off
	v_mul_f64 v[0:1], v[6:7], s[0:1]
	v_mul_f64 v[2:3], v[8:9], s[0:1]
	;; [unrolled: 1-line block ×4, first 2 shown]
	v_mov_b32_e32 v9, s2
	v_add_co_u32_e32 v8, vcc, s3, v14
	v_addc_co_u32_e32 v9, vcc, v15, v9, vcc
	global_store_dwordx4 v[8:9], v[0:3], off
	s_nop 0
	v_mov_b32_e32 v1, s2
	v_add_co_u32_e32 v0, vcc, s3, v8
	v_addc_co_u32_e32 v1, vcc, v9, v1, vcc
	global_store_dwordx4 v[0:1], v[4:7], off
.LBB0_18:
	s_endpgm
	.section	.rodata,"a",@progbits
	.p2align	6, 0x0
	.amdhsa_kernel bluestein_single_fwd_len1800_dim1_dp_op_CI_CI
		.amdhsa_group_segment_fixed_size 28800
		.amdhsa_private_segment_fixed_size 0
		.amdhsa_kernarg_size 104
		.amdhsa_user_sgpr_count 6
		.amdhsa_user_sgpr_private_segment_buffer 1
		.amdhsa_user_sgpr_dispatch_ptr 0
		.amdhsa_user_sgpr_queue_ptr 0
		.amdhsa_user_sgpr_kernarg_segment_ptr 1
		.amdhsa_user_sgpr_dispatch_id 0
		.amdhsa_user_sgpr_flat_scratch_init 0
		.amdhsa_user_sgpr_private_segment_size 0
		.amdhsa_uses_dynamic_stack 0
		.amdhsa_system_sgpr_private_segment_wavefront_offset 0
		.amdhsa_system_sgpr_workgroup_id_x 1
		.amdhsa_system_sgpr_workgroup_id_y 0
		.amdhsa_system_sgpr_workgroup_id_z 0
		.amdhsa_system_sgpr_workgroup_info 0
		.amdhsa_system_vgpr_workitem_id 0
		.amdhsa_next_free_vgpr 233
		.amdhsa_next_free_sgpr 26
		.amdhsa_reserve_vcc 1
		.amdhsa_reserve_flat_scratch 0
		.amdhsa_float_round_mode_32 0
		.amdhsa_float_round_mode_16_64 0
		.amdhsa_float_denorm_mode_32 3
		.amdhsa_float_denorm_mode_16_64 3
		.amdhsa_dx10_clamp 1
		.amdhsa_ieee_mode 1
		.amdhsa_fp16_overflow 0
		.amdhsa_exception_fp_ieee_invalid_op 0
		.amdhsa_exception_fp_denorm_src 0
		.amdhsa_exception_fp_ieee_div_zero 0
		.amdhsa_exception_fp_ieee_overflow 0
		.amdhsa_exception_fp_ieee_underflow 0
		.amdhsa_exception_fp_ieee_inexact 0
		.amdhsa_exception_int_div_zero 0
	.end_amdhsa_kernel
	.text
.Lfunc_end0:
	.size	bluestein_single_fwd_len1800_dim1_dp_op_CI_CI, .Lfunc_end0-bluestein_single_fwd_len1800_dim1_dp_op_CI_CI
                                        ; -- End function
	.section	.AMDGPU.csdata,"",@progbits
; Kernel info:
; codeLenInByte = 14428
; NumSgprs: 30
; NumVgprs: 233
; ScratchSize: 0
; MemoryBound: 0
; FloatMode: 240
; IeeeMode: 1
; LDSByteSize: 28800 bytes/workgroup (compile time only)
; SGPRBlocks: 3
; VGPRBlocks: 58
; NumSGPRsForWavesPerEU: 30
; NumVGPRsForWavesPerEU: 233
; Occupancy: 1
; WaveLimiterHint : 1
; COMPUTE_PGM_RSRC2:SCRATCH_EN: 0
; COMPUTE_PGM_RSRC2:USER_SGPR: 6
; COMPUTE_PGM_RSRC2:TRAP_HANDLER: 0
; COMPUTE_PGM_RSRC2:TGID_X_EN: 1
; COMPUTE_PGM_RSRC2:TGID_Y_EN: 0
; COMPUTE_PGM_RSRC2:TGID_Z_EN: 0
; COMPUTE_PGM_RSRC2:TIDIG_COMP_CNT: 0
	.type	__hip_cuid_48d7918e4c09cab1,@object ; @__hip_cuid_48d7918e4c09cab1
	.section	.bss,"aw",@nobits
	.globl	__hip_cuid_48d7918e4c09cab1
__hip_cuid_48d7918e4c09cab1:
	.byte	0                               ; 0x0
	.size	__hip_cuid_48d7918e4c09cab1, 1

	.ident	"AMD clang version 19.0.0git (https://github.com/RadeonOpenCompute/llvm-project roc-6.4.0 25133 c7fe45cf4b819c5991fe208aaa96edf142730f1d)"
	.section	".note.GNU-stack","",@progbits
	.addrsig
	.addrsig_sym __hip_cuid_48d7918e4c09cab1
	.amdgpu_metadata
---
amdhsa.kernels:
  - .args:
      - .actual_access:  read_only
        .address_space:  global
        .offset:         0
        .size:           8
        .value_kind:     global_buffer
      - .actual_access:  read_only
        .address_space:  global
        .offset:         8
        .size:           8
        .value_kind:     global_buffer
      - .actual_access:  read_only
        .address_space:  global
        .offset:         16
        .size:           8
        .value_kind:     global_buffer
      - .actual_access:  read_only
        .address_space:  global
        .offset:         24
        .size:           8
        .value_kind:     global_buffer
      - .actual_access:  read_only
        .address_space:  global
        .offset:         32
        .size:           8
        .value_kind:     global_buffer
      - .offset:         40
        .size:           8
        .value_kind:     by_value
      - .address_space:  global
        .offset:         48
        .size:           8
        .value_kind:     global_buffer
      - .address_space:  global
        .offset:         56
        .size:           8
        .value_kind:     global_buffer
      - .address_space:  global
        .offset:         64
        .size:           8
        .value_kind:     global_buffer
      - .address_space:  global
        .offset:         72
        .size:           8
        .value_kind:     global_buffer
      - .offset:         80
        .size:           4
        .value_kind:     by_value
      - .address_space:  global
        .offset:         88
        .size:           8
        .value_kind:     global_buffer
      - .address_space:  global
        .offset:         96
        .size:           8
        .value_kind:     global_buffer
    .group_segment_fixed_size: 28800
    .kernarg_segment_align: 8
    .kernarg_segment_size: 104
    .language:       OpenCL C
    .language_version:
      - 2
      - 0
    .max_flat_workgroup_size: 180
    .name:           bluestein_single_fwd_len1800_dim1_dp_op_CI_CI
    .private_segment_fixed_size: 0
    .sgpr_count:     30
    .sgpr_spill_count: 0
    .symbol:         bluestein_single_fwd_len1800_dim1_dp_op_CI_CI.kd
    .uniform_work_group_size: 1
    .uses_dynamic_stack: false
    .vgpr_count:     233
    .vgpr_spill_count: 0
    .wavefront_size: 64
amdhsa.target:   amdgcn-amd-amdhsa--gfx906
amdhsa.version:
  - 1
  - 2
...

	.end_amdgpu_metadata
